;; amdgpu-corpus repo=ROCm/rocFFT kind=compiled arch=gfx1201 opt=O3
	.text
	.amdgcn_target "amdgcn-amd-amdhsa--gfx1201"
	.amdhsa_code_object_version 6
	.protected	bluestein_single_fwd_len1092_dim1_dp_op_CI_CI ; -- Begin function bluestein_single_fwd_len1092_dim1_dp_op_CI_CI
	.globl	bluestein_single_fwd_len1092_dim1_dp_op_CI_CI
	.p2align	8
	.type	bluestein_single_fwd_len1092_dim1_dp_op_CI_CI,@function
bluestein_single_fwd_len1092_dim1_dp_op_CI_CI: ; @bluestein_single_fwd_len1092_dim1_dp_op_CI_CI
; %bb.0:
	s_load_b128 s[8:11], s[0:1], 0x28
	v_mul_u32_u24_e32 v1, 0x4ed, v0
	s_mov_b32 s2, exec_lo
	v_mov_b32_e32 v6, 0
	s_delay_alu instid0(VALU_DEP_2) | instskip(NEXT) | instid1(VALU_DEP_1)
	v_lshrrev_b32_e32 v1, 16, v1
	v_add_nc_u32_e32 v5, ttmp9, v1
	s_wait_kmcnt 0x0
	s_delay_alu instid0(VALU_DEP_1)
	v_cmpx_gt_u64_e64 s[8:9], v[5:6]
	s_cbranch_execz .LBB0_31
; %bb.1:
	s_load_b128 s[4:7], s[0:1], 0x18
	v_mul_lo_u16 v1, v1, 52
	s_movk_i32 s2, 0xfe12
	s_mov_b32 s3, -1
	v_mov_b32_e32 v6, v5
	s_wait_kmcnt 0x0
	s_load_b128 s[12:15], s[4:5], 0x0
	s_load_b64 s[16:17], s[0:1], 0x0
	v_sub_nc_u16 v2, v0, v1
	s_delay_alu instid0(VALU_DEP_1) | instskip(NEXT) | instid1(VALU_DEP_1)
	v_and_b32_e32 v183, 0xffff, v2
	v_lshlrev_b32_e32 v182, 4, v183
	s_wait_kmcnt 0x0
	s_clause 0x3
	global_load_b128 v[115:118], v182, s[16:17]
	global_load_b128 v[192:195], v182, s[16:17] offset:832
	global_load_b128 v[196:199], v182, s[16:17] offset:8736
	;; [unrolled: 1-line block ×3, first 2 shown]
	v_mad_co_u64_u32 v[0:1], null, s14, v5, 0
	v_mad_co_u64_u32 v[3:4], null, s12, v183, 0
	scratch_store_b64 off, v[6:7], off offset:220 ; 8-byte Folded Spill
	s_mul_u64 s[4:5], s[12:13], 0x222
	s_mul_u64 s[2:3], s[12:13], s[2:3]
	v_mad_co_u64_u32 v[5:6], null, s15, v5, v[1:2]
	s_lshl_b64 s[2:3], s[2:3], 4
	s_delay_alu instid0(VALU_DEP_1)
	v_mov_b32_e32 v1, v5
	v_mad_co_u64_u32 v[6:7], null, s13, v183, v[4:5]
	s_clause 0x5
	global_load_b128 v[220:223], v182, s[16:17] offset:1664
	global_load_b128 v[200:203], v182, s[16:17] offset:2496
	global_load_b128 v[212:215], v182, s[16:17] offset:10400
	global_load_b128 v[216:219], v182, s[16:17] offset:11232
	global_load_b128 v[228:231], v182, s[16:17] offset:3328
	global_load_b128 v[159:162], v182, s[16:17] offset:4160
	v_lshlrev_b64_e32 v[0:1], 4, v[0:1]
	s_clause 0x7
	global_load_b128 v[163:166], v182, s[16:17] offset:12064
	global_load_b128 v[167:170], v182, s[16:17] offset:12896
	global_load_b128 v[171:174], v182, s[16:17] offset:4992
	global_load_b128 v[175:178], v182, s[16:17] offset:5824
	global_load_b128 v[184:187], v182, s[16:17] offset:13728
	global_load_b128 v[188:191], v182, s[16:17] offset:14560
	global_load_b128 v[208:211], v182, s[16:17] offset:6656
	global_load_b128 v[224:227], v182, s[16:17] offset:15392
	v_mov_b32_e32 v4, v6
	v_add_co_u32 v0, vcc_lo, s10, v0
	v_add_co_ci_u32_e32 v1, vcc_lo, s11, v1, vcc_lo
	s_delay_alu instid0(VALU_DEP_3) | instskip(SKIP_1) | instid1(VALU_DEP_1)
	v_lshlrev_b64_e32 v[3:4], 4, v[3:4]
	s_lshl_b64 s[10:11], s[4:5], 4
	v_add_co_u32 v0, vcc_lo, v0, v3
	s_wait_alu 0xfffd
	s_delay_alu instid0(VALU_DEP_2) | instskip(SKIP_1) | instid1(VALU_DEP_2)
	v_add_co_ci_u32_e32 v1, vcc_lo, v1, v4, vcc_lo
	s_wait_alu 0xfffe
	v_add_co_u32 v7, vcc_lo, v0, s10
	s_wait_alu 0xfffd
	s_delay_alu instid0(VALU_DEP_2) | instskip(NEXT) | instid1(VALU_DEP_2)
	v_add_co_ci_u32_e32 v8, vcc_lo, s11, v1, vcc_lo
	v_add_co_u32 v11, vcc_lo, v7, s2
	s_wait_alu 0xfffd
	s_delay_alu instid0(VALU_DEP_2)
	v_add_co_ci_u32_e32 v12, vcc_lo, s3, v8, vcc_lo
	s_clause 0x1
	global_load_b128 v[3:6], v[0:1], off
	global_load_b128 v[7:10], v[7:8], off
	v_add_co_u32 v15, vcc_lo, v11, s10
	s_wait_alu 0xfffd
	v_add_co_ci_u32_e32 v16, vcc_lo, s11, v12, vcc_lo
	s_delay_alu instid0(VALU_DEP_2) | instskip(SKIP_1) | instid1(VALU_DEP_2)
	v_add_co_u32 v19, vcc_lo, v15, s2
	s_wait_alu 0xfffd
	v_add_co_ci_u32_e32 v20, vcc_lo, s3, v16, vcc_lo
	s_clause 0x1
	global_load_b128 v[11:14], v[11:12], off
	global_load_b128 v[15:18], v[15:16], off
	v_add_co_u32 v0, vcc_lo, v19, s10
	s_wait_alu 0xfffd
	v_add_co_ci_u32_e32 v1, vcc_lo, s11, v20, vcc_lo
	global_load_b128 v[19:22], v[19:20], off
	v_add_co_u32 v27, vcc_lo, v0, s2
	s_wait_alu 0xfffd
	v_add_co_ci_u32_e32 v28, vcc_lo, s3, v1, vcc_lo
	;; [unrolled: 4-line block ×14, first 2 shown]
	s_delay_alu instid0(VALU_DEP_2) | instskip(SKIP_1) | instid1(VALU_DEP_2)
	v_add_co_u32 v0, vcc_lo, v75, s10
	s_wait_alu 0xfffd
	v_add_co_ci_u32_e32 v1, vcc_lo, s11, v76, vcc_lo
	global_load_b128 v[71:74], v[71:72], off
	global_load_b128 v[232:235], v182, s[16:17] offset:7488
	global_load_b128 v[75:78], v[75:76], off
	global_load_b128 v[236:239], v182, s[16:17] offset:16224
	global_load_b128 v[79:82], v[0:1], off
	v_cmp_gt_u16_e32 vcc_lo, 26, v2
	s_wait_loadcnt 0x27
	scratch_store_b128 off, v[115:118], off offset:292 ; 16-byte Folded Spill
	s_wait_loadcnt 0x26
	scratch_store_b128 off, v[192:195], off offset:308 ; 16-byte Folded Spill
	;; [unrolled: 2-line block ×9, first 2 shown]
	s_wait_loadcnt 0x1d
	s_clause 0x1
	scratch_store_b128 off, v[163:166], off offset:188
	scratch_store_b128 off, v[159:162], off offset:172
	s_wait_loadcnt 0x1c
	scratch_store_b128 off, v[167:170], off offset:204 ; 16-byte Folded Spill
	s_wait_loadcnt 0x1b
	scratch_store_b128 off, v[171:174], off offset:228 ; 16-byte Folded Spill
	s_wait_loadcnt 0x19
	s_clause 0x1
	scratch_store_b128 off, v[184:187], off offset:260
	scratch_store_b128 off, v[175:178], off offset:244
	s_wait_loadcnt 0x18
	scratch_store_b128 off, v[188:191], off offset:276 ; 16-byte Folded Spill
	s_wait_loadcnt 0x17
	scratch_store_b128 off, v[208:211], off offset:372 ; 16-byte Folded Spill
	;; [unrolled: 2-line block ×3, first 2 shown]
	s_wait_loadcnt 0x15
	v_mul_f64_e32 v[83:84], v[5:6], v[117:118]
	v_mul_f64_e32 v[85:86], v[3:4], v[117:118]
	s_wait_loadcnt 0x14
	v_mul_f64_e32 v[87:88], v[9:10], v[198:199]
	v_mul_f64_e32 v[89:90], v[7:8], v[198:199]
	;; [unrolled: 3-line block ×8, first 2 shown]
	v_fma_f64 v[3:4], v[3:4], v[115:116], v[83:84]
	v_fma_f64 v[5:6], v[5:6], v[115:116], -v[85:86]
	s_wait_loadcnt 0xd
	v_mul_f64_e32 v[83:84], v[37:38], v[230:231]
	v_mul_f64_e32 v[85:86], v[35:36], v[230:231]
	s_wait_loadcnt 0xc
	v_mul_f64_e32 v[115:116], v[41:42], v[165:166]
	v_mul_f64_e32 v[117:118], v[39:40], v[165:166]
	v_fma_f64 v[7:8], v[7:8], v[196:197], v[87:88]
	v_fma_f64 v[9:10], v[9:10], v[196:197], -v[89:90]
	s_wait_loadcnt 0xb
	v_mul_f64_e32 v[119:120], v[45:46], v[161:162]
	v_mul_f64_e32 v[121:122], v[43:44], v[161:162]
	v_fma_f64 v[11:12], v[11:12], v[192:193], v[91:92]
	v_fma_f64 v[13:14], v[13:14], v[192:193], -v[93:94]
	v_fma_f64 v[15:16], v[15:16], v[204:205], v[95:96]
	s_wait_loadcnt 0xa
	v_mul_f64_e32 v[123:124], v[49:50], v[169:170]
	v_mul_f64_e32 v[125:126], v[47:48], v[169:170]
	v_fma_f64 v[17:18], v[17:18], v[204:205], -v[97:98]
	v_fma_f64 v[19:20], v[19:20], v[220:221], v[99:100]
	v_fma_f64 v[21:22], v[21:22], v[220:221], -v[101:102]
	s_wait_loadcnt 0x9
	v_mul_f64_e32 v[127:128], v[53:54], v[173:174]
	v_mul_f64_e32 v[129:130], v[51:52], v[173:174]
	v_fma_f64 v[23:24], v[23:24], v[212:213], v[103:104]
	v_fma_f64 v[25:26], v[25:26], v[212:213], -v[105:106]
	s_wait_loadcnt 0x8
	v_mul_f64_e32 v[131:132], v[57:58], v[186:187]
	v_mul_f64_e32 v[133:134], v[55:56], v[186:187]
	;; [unrolled: 5-line block ×4, first 2 shown]
	s_wait_loadcnt 0x5
	v_mul_f64_e32 v[143:144], v[69:70], v[210:211]
	v_mul_f64_e32 v[145:146], v[67:68], v[210:211]
	v_fma_f64 v[35:36], v[35:36], v[228:229], v[83:84]
	v_fma_f64 v[37:38], v[37:38], v[228:229], -v[85:86]
	v_fma_f64 v[39:40], v[39:40], v[163:164], v[115:116]
	v_fma_f64 v[41:42], v[41:42], v[163:164], -v[117:118]
	s_wait_loadcnt 0x4
	v_mul_f64_e32 v[147:148], v[73:74], v[226:227]
	v_mul_f64_e32 v[149:150], v[71:72], v[226:227]
	s_wait_loadcnt 0x2
	v_mul_f64_e32 v[151:152], v[77:78], v[234:235]
	v_mul_f64_e32 v[153:154], v[75:76], v[234:235]
	;; [unrolled: 3-line block ×3, first 2 shown]
	v_fma_f64 v[43:44], v[43:44], v[159:160], v[119:120]
	v_fma_f64 v[45:46], v[45:46], v[159:160], -v[121:122]
	v_fma_f64 v[47:48], v[47:48], v[167:168], v[123:124]
	v_fma_f64 v[49:50], v[49:50], v[167:168], -v[125:126]
	s_clause 0x1
	scratch_store_b128 off, v[232:235], off offset:468
	scratch_store_b128 off, v[236:239], off offset:484
	v_fma_f64 v[51:52], v[51:52], v[171:172], v[127:128]
	v_fma_f64 v[53:54], v[53:54], v[171:172], -v[129:130]
	s_load_b64 s[8:9], s[0:1], 0x38
	s_load_b128 s[4:7], s[6:7], 0x0
	v_add_co_u32 v83, s12, s16, v182
	v_fma_f64 v[55:56], v[55:56], v[184:185], v[131:132]
	v_fma_f64 v[57:58], v[57:58], v[184:185], -v[133:134]
	s_wait_alu 0xf1ff
	v_add_co_ci_u32_e64 v84, null, s17, 0, s12
	v_fma_f64 v[59:60], v[59:60], v[175:176], v[135:136]
	v_fma_f64 v[61:62], v[61:62], v[175:176], -v[137:138]
	scratch_store_b64 off, v[83:84], off offset:4 ; 8-byte Folded Spill
	v_fma_f64 v[63:64], v[63:64], v[188:189], v[139:140]
	v_fma_f64 v[65:66], v[65:66], v[188:189], -v[141:142]
	ds_store_b128 v182, v[3:6]
	ds_store_b128 v182, v[11:14] offset:832
	ds_store_b128 v182, v[7:10] offset:8736
	;; [unrolled: 1-line block ×15, first 2 shown]
	v_fma_f64 v[67:68], v[67:68], v[208:209], v[143:144]
	v_fma_f64 v[69:70], v[69:70], v[208:209], -v[145:146]
	v_fma_f64 v[75:76], v[75:76], v[232:233], v[151:152]
	v_fma_f64 v[77:78], v[77:78], v[232:233], -v[153:154]
	v_fma_f64 v[71:72], v[71:72], v[224:225], v[147:148]
	v_fma_f64 v[73:74], v[73:74], v[224:225], -v[149:150]
	v_fma_f64 v[79:80], v[79:80], v[236:237], v[155:156]
	v_fma_f64 v[81:82], v[81:82], v[236:237], -v[157:158]
	ds_store_b128 v182, v[67:70] offset:6656
	ds_store_b128 v182, v[75:78] offset:7488
	;; [unrolled: 1-line block ×4, first 2 shown]
	s_and_saveexec_b32 s12, vcc_lo
	s_cbranch_execz .LBB0_3
; %bb.2:
	v_add_co_u32 v0, s2, v0, s2
	s_wait_alu 0xf1ff
	v_add_co_ci_u32_e64 v1, s2, s3, v1, s2
	s_delay_alu instid0(VALU_DEP_2) | instskip(SKIP_1) | instid1(VALU_DEP_2)
	v_add_co_u32 v12, s2, v0, s10
	s_wait_alu 0xf1ff
	v_add_co_ci_u32_e64 v13, s2, s11, v1, s2
	global_load_b128 v[0:3], v[0:1], off
	scratch_load_b64 v[8:9], off, off offset:4 ; 8-byte Folded Reload
	s_wait_loadcnt 0x0
	s_clause 0x1
	global_load_b128 v[4:7], v[8:9], off offset:8320
	global_load_b128 v[8:11], v[8:9], off offset:17056
	global_load_b128 v[12:15], v[12:13], off
	s_wait_loadcnt 0x2
	v_mul_f64_e32 v[16:17], v[2:3], v[6:7]
	v_mul_f64_e32 v[6:7], v[0:1], v[6:7]
	s_wait_loadcnt 0x0
	v_mul_f64_e32 v[18:19], v[14:15], v[10:11]
	v_mul_f64_e32 v[10:11], v[12:13], v[10:11]
	s_delay_alu instid0(VALU_DEP_4) | instskip(NEXT) | instid1(VALU_DEP_4)
	v_fma_f64 v[0:1], v[0:1], v[4:5], v[16:17]
	v_fma_f64 v[2:3], v[2:3], v[4:5], -v[6:7]
	s_delay_alu instid0(VALU_DEP_4) | instskip(NEXT) | instid1(VALU_DEP_4)
	v_fma_f64 v[4:5], v[12:13], v[8:9], v[18:19]
	v_fma_f64 v[6:7], v[14:15], v[8:9], -v[10:11]
	ds_store_b128 v182, v[0:3] offset:8320
	ds_store_b128 v182, v[4:7] offset:17056
.LBB0_3:
	s_wait_alu 0xfffe
	s_or_b32 exec_lo, exec_lo, s12
	global_wb scope:SCOPE_SE
	s_wait_storecnt_dscnt 0x0
	s_wait_kmcnt 0x0
	s_barrier_signal -1
	s_barrier_wait -1
	global_inv scope:SCOPE_SE
	ds_load_b128 v[28:31], v182
	ds_load_b128 v[32:35], v182 offset:832
	ds_load_b128 v[84:87], v182 offset:8736
	;; [unrolled: 1-line block ×19, first 2 shown]
                                        ; implicit-def: $vgpr12_vgpr13
                                        ; implicit-def: $vgpr48_vgpr49
	s_and_saveexec_b32 s2, vcc_lo
	s_cbranch_execz .LBB0_5
; %bb.4:
	ds_load_b128 v[12:15], v182 offset:8320
	ds_load_b128 v[48:51], v182 offset:17056
.LBB0_5:
	s_wait_alu 0xfffe
	s_or_b32 exec_lo, exec_lo, s2
	s_wait_dscnt 0x11
	v_add_f64_e64 v[84:85], v[28:29], -v[84:85]
	v_add_f64_e64 v[86:87], v[30:31], -v[86:87]
	s_wait_dscnt 0x10
	v_add_f64_e64 v[80:81], v[32:33], -v[80:81]
	v_add_f64_e64 v[82:83], v[34:35], -v[82:83]
	;; [unrolled: 3-line block ×10, first 2 shown]
	v_add_f64_e64 v[0:1], v[12:13], -v[48:49]
	v_add_f64_e64 v[2:3], v[14:15], -v[50:51]
	v_add_co_u32 v142, null, v183, 52
	global_wb scope:SCOPE_SE
	s_barrier_signal -1
	s_barrier_wait -1
	v_lshlrev_b32_e32 v48, 1, v142
	global_inv scope:SCOPE_SE
	v_lshlrev_b32_e32 v88, 1, v183
	v_add_co_u32 v96, null, 0x68, v183
	scratch_store_b32 off, v48, off offset:888 ; 4-byte Folded Spill
	s_load_b64 s[2:3], s[0:1], 0x8
	v_add_nc_u32_e32 v90, 0x138, v88
	v_add_co_u32 v91, null, 0xd0, v183
	v_add_co_u32 v92, null, 0x104, v183
	v_fma_f64 v[28:29], v[28:29], 2.0, -v[84:85]
	v_fma_f64 v[30:31], v[30:31], 2.0, -v[86:87]
	;; [unrolled: 1-line block ×22, first 2 shown]
	v_lshlrev_b32_e32 v93, 5, v183
	v_lshlrev_b32_e32 v95, 5, v142
	;; [unrolled: 1-line block ×6, first 2 shown]
	v_add_co_u32 v94, null, 0x138, v183
	s_clause 0x1
	scratch_store_b32 off, v12, off offset:920
	scratch_store_b32 off, v96, off offset:12
	v_lshlrev_b32_e32 v12, 5, v91
	scratch_store_b32 off, v93, off offset:760 ; 4-byte Folded Spill
	v_add_co_u32 v89, null, 0x208, v183
	v_add_nc_u32_e32 v96, 0x3a8, v88
	v_lshlrev_b32_e32 v91, 1, v91
	ds_store_b128 v93, v[28:31]
	ds_store_b128 v93, v[84:87] offset:16
	ds_store_b128 v95, v[32:35]
	scratch_store_b32 off, v95, off offset:776 ; 4-byte Folded Spill
	ds_store_b128 v95, v[80:83] offset:16
	ds_store_b128 v14, v[40:43]
	scratch_store_b32 off, v14, off offset:844 ; 4-byte Folded Spill
	ds_store_b128 v14, v[76:79] offset:16
	ds_store_b128 v15, v[44:47] offset:4992
	s_clause 0x2
	scratch_store_b32 off, v13, off offset:744
	scratch_store_b32 off, v12, off offset:736
	scratch_store_b32 off, v15, off offset:640
	ds_store_b128 v13, v[72:75] offset:16
	v_lshlrev_b32_e32 v13, 5, v92
	v_lshlrev_b32_e32 v93, 1, v92
	v_add_nc_u32_e32 v92, 0x2d8, v88
	ds_store_b128 v12, v[36:39]
	ds_store_b128 v12, v[68:71] offset:16
	ds_store_b128 v13, v[24:27]
	ds_store_b128 v13, v[64:67] offset:16
	v_lshlrev_b32_e32 v12, 5, v94
	scratch_store_b32 off, v13, off offset:752 ; 4-byte Folded Spill
	v_lshlrev_b32_e32 v95, 1, v94
	v_add_nc_u32_e32 v94, 0x340, v88
	v_lshlrev_b32_e32 v13, 4, v92
	ds_store_b128 v12, v[20:23]
	ds_store_b128 v12, v[60:63] offset:16
	ds_store_b128 v15, v[16:19] offset:11648
	v_lshlrev_b32_e32 v14, 4, v94
	ds_store_b128 v13, v[56:59] offset:16
	scratch_store_b32 off, v13, off offset:824 ; 4-byte Folded Spill
	v_lshlrev_b32_e32 v13, 4, v96
	scratch_store_b32 off, v12, off offset:792 ; 4-byte Folded Spill
	v_lshlrev_b32_e32 v12, 5, v89
	ds_store_b128 v15, v[48:51] offset:13312
	ds_store_b128 v14, v[52:55] offset:16
	s_clause 0x2
	scratch_store_b32 off, v14, off offset:840
	scratch_store_b32 off, v13, off offset:808
	;; [unrolled: 1-line block ×3, first 2 shown]
	ds_store_b128 v15, v[8:11] offset:14976
	ds_store_b128 v13, v[97:100] offset:16
	s_and_saveexec_b32 s0, vcc_lo
	s_cbranch_execz .LBB0_7
; %bb.6:
	v_lshlrev_b32_e32 v8, 5, v89
	ds_store_b128 v8, v[4:7]
	ds_store_b128 v8, v[0:3] offset:16
.LBB0_7:
	s_wait_alu 0xfffe
	s_or_b32 exec_lo, exec_lo, s0
	global_wb scope:SCOPE_SE
	s_wait_storecnt_dscnt 0x0
	s_wait_kmcnt 0x0
	s_barrier_signal -1
	s_barrier_wait -1
	global_inv scope:SCOPE_SE
	ds_load_b128 v[24:27], v182
	ds_load_b128 v[28:31], v182 offset:832
	ds_load_b128 v[12:15], v182 offset:8736
	;; [unrolled: 1-line block ×19, first 2 shown]
	s_and_saveexec_b32 s0, vcc_lo
	s_cbranch_execz .LBB0_9
; %bb.8:
	ds_load_b128 v[4:7], v182 offset:8320
	ds_load_b128 v[0:3], v182 offset:17056
.LBB0_9:
	s_wait_alu 0xfffe
	s_or_b32 exec_lo, exec_lo, s0
	v_and_b32_e32 v141, 1, v183
	v_lshlrev_b32_e32 v89, 1, v89
	scratch_store_b32 off, v142, off offset:540 ; 4-byte Folded Spill
	v_lshlrev_b32_e32 v97, 4, v141
	s_clause 0x1
	scratch_store_b32 off, v89, off offset:728
	scratch_store_b32 off, v141, off offset:1080
	v_and_or_b32 v93, 0x2fc, v93, v141
	v_and_or_b32 v95, 0x2fc, v95, v141
	global_load_b128 v[200:203], v97, s[2:3]
	s_wait_loadcnt_dscnt 0x10
	v_mul_f64_e32 v[101:102], v[10:11], v[202:203]
	s_wait_dscnt 0x8
	v_mul_f64_e32 v[117:118], v[66:67], v[202:203]
	v_mul_f64_e32 v[97:98], v[14:15], v[202:203]
	;; [unrolled: 1-line block ×4, first 2 shown]
	s_wait_dscnt 0x1
	v_mul_f64_e32 v[129:130], v[86:87], v[202:203]
	v_mul_f64_e32 v[99:100], v[12:13], v[202:203]
	;; [unrolled: 1-line block ×13, first 2 shown]
	s_wait_dscnt 0x0
	v_mul_f64_e32 v[133:134], v[82:83], v[202:203]
	v_mul_f64_e32 v[135:136], v[80:81], v[202:203]
	;; [unrolled: 1-line block ×4, first 2 shown]
	v_fma_f64 v[8:9], v[8:9], v[200:201], -v[101:102]
	v_fma_f64 v[101:102], v[64:65], v[200:201], -v[117:118]
	;; [unrolled: 1-line block ×3, first 2 shown]
	v_fma_f64 v[10:11], v[10:11], v[200:201], v[103:104]
	v_fma_f64 v[97:98], v[68:69], v[200:201], -v[113:114]
	v_fma_f64 v[113:114], v[84:85], v[200:201], -v[129:130]
	v_fma_f64 v[14:15], v[14:15], v[200:201], v[99:100]
	v_fma_f64 v[20:21], v[20:21], v[200:201], -v[105:106]
	v_fma_f64 v[22:23], v[22:23], v[200:201], v[107:108]
	;; [unrolled: 2-line block ×3, first 2 shown]
	v_fma_f64 v[99:100], v[70:71], v[200:201], v[115:116]
	v_fma_f64 v[103:104], v[66:67], v[200:201], v[119:120]
	v_fma_f64 v[105:106], v[76:77], v[200:201], -v[121:122]
	v_fma_f64 v[107:108], v[78:79], v[200:201], v[123:124]
	v_fma_f64 v[109:110], v[72:73], v[200:201], -v[125:126]
	v_fma_f64 v[111:112], v[74:75], v[200:201], v[127:128]
	v_fma_f64 v[115:116], v[86:87], v[200:201], v[131:132]
	v_fma_f64 v[117:118], v[80:81], v[200:201], -v[133:134]
	v_fma_f64 v[119:120], v[82:83], v[200:201], v[135:136]
	v_fma_f64 v[121:122], v[0:1], v[200:201], -v[137:138]
	v_fma_f64 v[123:124], v[2:3], v[200:201], v[139:140]
	v_add_f64_e64 v[68:69], v[28:29], -v[8:9]
	v_add_f64_e64 v[84:85], v[44:45], -v[101:102]
	v_and_or_b32 v101, 0x7c, v88, v141
	v_lshlrev_b32_e32 v88, 1, v142
	v_add_f64_e64 v[64:65], v[24:25], -v[12:13]
	v_add_f64_e64 v[70:71], v[30:31], -v[10:11]
	;; [unrolled: 1-line block ×4, first 2 shown]
	v_and_or_b32 v102, 0xfc, v88, v141
	scratch_load_b32 v88, off, off offset:12 ; 4-byte Folded Reload
	v_add_f64_e64 v[72:73], v[32:33], -v[20:21]
	v_add_f64_e64 v[74:75], v[34:35], -v[22:23]
	;; [unrolled: 1-line block ×16, first 2 shown]
	v_and_or_b32 v104, 0x1fc, v90, v141
	v_and_or_b32 v105, 0x3fc, v91, v141
	global_wb scope:SCOPE_SE
	s_wait_loadcnt 0x0
	s_wait_storecnt 0x0
	s_barrier_signal -1
	s_barrier_wait -1
	global_inv scope:SCOPE_SE
	v_fma_f64 v[97:98], v[28:29], 2.0, -v[68:69]
	v_fma_f64 v[44:45], v[44:45], 2.0, -v[84:85]
	;; [unrolled: 1-line block ×20, first 2 shown]
	v_and_or_b32 v4, 0x3fc, v92, v141
	v_and_or_b32 v5, 0x3fc, v94, v141
	;; [unrolled: 1-line block ×3, first 2 shown]
	v_lshlrev_b32_e32 v58, 4, v101
	v_lshlrev_b32_e32 v55, 4, v104
	;; [unrolled: 1-line block ×8, first 2 shown]
	scratch_store_b32 off, v58, off offset:884 ; 4-byte Folded Spill
	v_lshlrev_b32_e32 v88, 1, v88
	s_delay_alu instid0(VALU_DEP_1) | instskip(SKIP_3) | instid1(VALU_DEP_4)
	v_and_or_b32 v103, 0x1fc, v88, v141
	v_fma_f64 v[88:89], v[24:25], 2.0, -v[64:65]
	v_fma_f64 v[24:25], v[56:57], 2.0, -v[8:9]
	v_lshlrev_b32_e32 v57, 4, v102
	v_lshlrev_b32_e32 v56, 4, v103
	ds_store_b128 v58, v[88:91]
	ds_store_b128 v58, v[64:67] offset:32
	ds_store_b128 v57, v[97:100]
	scratch_store_b32 off, v57, off offset:880 ; 4-byte Folded Spill
	ds_store_b128 v57, v[68:71] offset:32
	ds_store_b128 v56, v[32:35]
	scratch_store_b32 off, v56, off offset:876 ; 4-byte Folded Spill
	;; [unrolled: 3-line block ×9, first 2 shown]
	ds_store_b128 v4, v[12:15] offset:32
	s_and_saveexec_b32 s0, vcc_lo
	s_cbranch_execz .LBB0_11
; %bb.10:
	scratch_load_b32 v5, off, off offset:728 ; 4-byte Folded Reload
	v_and_b32_e32 v4, 1, v183
	s_wait_loadcnt 0x0
	s_delay_alu instid0(VALU_DEP_1) | instskip(NEXT) | instid1(VALU_DEP_1)
	v_and_or_b32 v4, 0x47c, v5, v4
	v_lshlrev_b32_e32 v4, 4, v4
	ds_store_b128 v4, v[128:131]
	ds_store_b128 v4, v[16:19] offset:32
.LBB0_11:
	s_wait_alu 0xfffe
	s_or_b32 exec_lo, exec_lo, s0
	global_wb scope:SCOPE_SE
	s_wait_storecnt_dscnt 0x0
	s_barrier_signal -1
	s_barrier_wait -1
	global_inv scope:SCOPE_SE
	ds_load_b128 v[4:7], v182
	ds_load_b128 v[48:51], v182 offset:1344
	ds_load_b128 v[40:43], v182 offset:2688
	;; [unrolled: 1-line block ×12, first 2 shown]
	v_cmp_gt_u16_e64 s0, 32, v183
                                        ; implicit-def: $vgpr152_vgpr153
                                        ; implicit-def: $vgpr136_vgpr137
                                        ; implicit-def: $vgpr140_vgpr141
                                        ; implicit-def: $vgpr144_vgpr145
	s_delay_alu instid0(VALU_DEP_1)
	s_and_saveexec_b32 s1, s0
	s_cbranch_execz .LBB0_13
; %bb.12:
	ds_load_b128 v[0:3], v182 offset:832
	ds_load_b128 v[132:135], v182 offset:2176
	;; [unrolled: 1-line block ×13, first 2 shown]
.LBB0_13:
	s_wait_alu 0xfffe
	s_or_b32 exec_lo, exec_lo, s1
	v_and_b32_e32 v101, 3, v183
	s_mov_b32 s34, 0x4267c47c
	s_mov_b32 s30, 0x42a4c3d2
	s_mov_b32 s28, 0x66966769
	s_mov_b32 s24, 0x2ef20147
	v_mul_u32_u24_e32 v52, 12, v101
	s_mov_b32 s26, 0x24c2f84
	s_mov_b32 s36, 0x4bc48dbf
	;; [unrolled: 1-line block ×4, first 2 shown]
	v_lshlrev_b32_e32 v54, 4, v52
	s_mov_b32 s29, 0xbfefc445
	s_mov_b32 s25, 0xbfedeba7
	;; [unrolled: 1-line block ×4, first 2 shown]
	s_clause 0x1
	global_load_b128 v[106:109], v54, s[2:3] offset:32
	global_load_b128 v[59:62], v54, s[2:3] offset:48
	s_mov_b32 s22, 0xe00740e9
	s_mov_b32 s20, 0x1ea71119
	;; [unrolled: 1-line block ×24, first 2 shown]
	s_wait_loadcnt_dscnt 0x10b
	v_mul_f64_e32 v[52:53], v[48:49], v[108:109]
	s_wait_loadcnt 0x0
	v_dual_mov_b32 v70, v62 :: v_dual_mov_b32 v69, v61
	s_clause 0x1
	global_load_b128 v[55:58], v54, s[2:3] offset:208
	global_load_b128 v[102:105], v54, s[2:3] offset:192
	v_dual_mov_b32 v68, v60 :: v_dual_mov_b32 v67, v59
	v_fma_f64 v[52:53], v[50:51], v[106:107], v[52:53]
	v_mul_f64_e32 v[50:51], v[50:51], v[108:109]
	s_delay_alu instid0(VALU_DEP_1) | instskip(SKIP_2) | instid1(VALU_DEP_1)
	v_fma_f64 v[48:49], v[48:49], v[106:107], -v[50:51]
	s_wait_loadcnt_dscnt 0x100
	v_mul_f64_e32 v[50:51], v[44:45], v[57:58]
	v_fma_f64 v[50:51], v[46:47], v[55:56], v[50:51]
	v_mul_f64_e32 v[46:47], v[46:47], v[57:58]
	s_delay_alu instid0(VALU_DEP_1) | instskip(SKIP_1) | instid1(VALU_DEP_1)
	v_fma_f64 v[166:167], v[44:45], v[55:56], -v[46:47]
	v_mul_f64_e32 v[44:45], v[42:43], v[61:62]
	v_fma_f64 v[170:171], v[40:41], v[59:60], -v[44:45]
	v_mul_f64_e32 v[40:41], v[40:41], v[61:62]
	s_delay_alu instid0(VALU_DEP_1) | instskip(SKIP_2) | instid1(VALU_DEP_1)
	v_fma_f64 v[172:173], v[42:43], v[59:60], v[40:41]
	s_wait_loadcnt 0x0
	v_mul_f64_e32 v[40:41], v[36:37], v[104:105]
	v_fma_f64 v[168:169], v[38:39], v[102:103], v[40:41]
	v_mul_f64_e32 v[38:39], v[38:39], v[104:105]
	s_delay_alu instid0(VALU_DEP_1)
	v_fma_f64 v[174:175], v[36:37], v[102:103], -v[38:39]
	s_clause 0x1
	global_load_b128 v[38:41], v54, s[2:3] offset:64
	global_load_b128 v[42:45], v54, s[2:3] offset:80
	s_wait_loadcnt 0x1
	v_mul_f64_e32 v[36:37], v[34:35], v[40:41]
	s_delay_alu instid0(VALU_DEP_1) | instskip(SKIP_1) | instid1(VALU_DEP_1)
	v_fma_f64 v[176:177], v[32:33], v[38:39], -v[36:37]
	v_mul_f64_e32 v[32:33], v[32:33], v[40:41]
	v_fma_f64 v[178:179], v[34:35], v[38:39], v[32:33]
	s_clause 0x1
	global_load_b128 v[34:37], v54, s[2:3] offset:176
	global_load_b128 v[63:66], v54, s[2:3] offset:160
	s_wait_loadcnt 0x1
	v_mul_f64_e32 v[32:33], v[162:163], v[36:37]
	s_delay_alu instid0(VALU_DEP_1) | instskip(SKIP_1) | instid1(VALU_DEP_1)
	v_fma_f64 v[180:181], v[160:161], v[34:35], -v[32:33]
	v_mul_f64_e32 v[32:33], v[160:161], v[36:37]
	v_fma_f64 v[164:165], v[162:163], v[34:35], v[32:33]
	v_mul_f64_e32 v[32:33], v[118:119], v[44:45]
	s_delay_alu instid0(VALU_DEP_1) | instskip(SKIP_1) | instid1(VALU_DEP_1)
	v_fma_f64 v[184:185], v[116:117], v[42:43], -v[32:33]
	v_mul_f64_e32 v[32:33], v[116:117], v[44:45]
	v_fma_f64 v[186:187], v[118:119], v[42:43], v[32:33]
	s_wait_loadcnt 0x0
	v_mul_f64_e32 v[32:33], v[112:113], v[65:66]
	s_delay_alu instid0(VALU_DEP_1) | instskip(SKIP_1) | instid1(VALU_DEP_1)
	v_fma_f64 v[162:163], v[114:115], v[63:64], v[32:33]
	v_mul_f64_e32 v[32:33], v[114:115], v[65:66]
	v_fma_f64 v[188:189], v[112:113], v[63:64], -v[32:33]
	v_dual_mov_b32 v113, v58 :: v_dual_mov_b32 v112, v57
	v_dual_mov_b32 v111, v56 :: v_dual_mov_b32 v110, v55
	s_clause 0x1
	global_load_b128 v[55:58], v54, s[2:3] offset:96
	global_load_b128 v[59:62], v54, s[2:3] offset:112
	scratch_store_b32 off, v183, off        ; 4-byte Folded Spill
	v_add_f64_e64 v[72:73], v[184:185], -v[188:189]
	s_wait_loadcnt 0x1
	v_mul_f64_e32 v[32:33], v[126:127], v[57:58]
	s_delay_alu instid0(VALU_DEP_1) | instskip(SKIP_1) | instid1(VALU_DEP_1)
	v_fma_f64 v[190:191], v[124:125], v[55:56], -v[32:33]
	v_mul_f64_e32 v[32:33], v[124:125], v[57:58]
	v_fma_f64 v[192:193], v[126:127], v[55:56], v[32:33]
	s_wait_loadcnt 0x0
	v_mul_f64_e32 v[32:33], v[122:123], v[61:62]
	s_delay_alu instid0(VALU_DEP_1) | instskip(SKIP_3) | instid1(VALU_DEP_3)
	v_fma_f64 v[194:195], v[120:121], v[59:60], -v[32:33]
	v_mul_f64_e32 v[32:33], v[120:121], v[61:62]
	v_dual_mov_b32 v121, v41 :: v_dual_mov_b32 v120, v40
	v_dual_mov_b32 v119, v39 :: v_dual_mov_b32 v118, v38
	v_fma_f64 v[196:197], v[122:123], v[59:60], v[32:33]
	v_dual_mov_b32 v125, v37 :: v_dual_mov_b32 v124, v36
	v_dual_mov_b32 v123, v35 :: v_dual_mov_b32 v122, v34
	s_clause 0x1
	global_load_b128 v[38:41], v54, s[2:3] offset:128
	global_load_b128 v[34:37], v54, s[2:3] offset:144
	s_clause 0x5
	scratch_store_b128 off, v[42:45], off offset:28
	scratch_store_b128 off, v[63:66], off offset:44
	;; [unrolled: 1-line block ×3, first 2 shown]
	scratch_store_b64 off, v[50:51], off offset:500
	scratch_store_b128 off, v[55:58], off offset:508
	scratch_store_b128 off, v[59:62], off offset:524
	s_wait_loadcnt 0x1
	v_mul_f64_e32 v[32:33], v[158:159], v[40:41]
	scratch_store_b128 off, v[38:41], off offset:76 ; 16-byte Folded Spill
	s_wait_loadcnt 0x0
	scratch_store_b128 off, v[34:37], off offset:60 ; 16-byte Folded Spill
	v_fma_f64 v[198:199], v[156:157], v[38:39], -v[32:33]
	v_mul_f64_e32 v[32:33], v[156:157], v[40:41]
	s_delay_alu instid0(VALU_DEP_1) | instskip(SKIP_1) | instid1(VALU_DEP_1)
	v_fma_f64 v[204:205], v[158:159], v[38:39], v[32:33]
	v_mul_f64_e32 v[32:33], v[150:151], v[36:37]
	v_fma_f64 v[206:207], v[148:149], v[34:35], -v[32:33]
	v_mul_f64_e32 v[32:33], v[148:149], v[36:37]
	s_delay_alu instid0(VALU_DEP_1) | instskip(SKIP_1) | instid1(VALU_DEP_2)
	v_fma_f64 v[208:209], v[150:151], v[34:35], v[32:33]
	v_mul_f64_e32 v[32:33], v[134:135], v[108:109]
	v_add_f64_e64 v[76:77], v[192:193], -v[208:209]
	s_delay_alu instid0(VALU_DEP_2) | instskip(SKIP_2) | instid1(VALU_DEP_2)
	v_fma_f64 v[210:211], v[132:133], v[106:107], -v[32:33]
	v_mul_f64_e32 v[32:33], v[132:133], v[108:109]
	v_add_f64_e64 v[132:133], v[196:197], -v[204:205]
	v_fma_f64 v[236:237], v[134:135], v[106:107], v[32:33]
	v_mul_f64_e32 v[32:33], v[22:23], v[69:70]
	v_add_f64_e64 v[134:135], v[194:195], -v[198:199]
	s_delay_alu instid0(VALU_DEP_3) | instskip(NEXT) | instid1(VALU_DEP_3)
	v_dual_mov_b32 v126, v236 :: v_dual_mov_b32 v127, v237
	v_fma_f64 v[232:233], v[20:21], v[67:68], -v[32:33]
	v_mul_f64_e32 v[20:21], v[20:21], v[69:70]
	s_delay_alu instid0(VALU_DEP_1) | instskip(SKIP_2) | instid1(VALU_DEP_2)
	v_fma_f64 v[96:97], v[22:23], v[67:68], v[20:21]
	v_mul_f64_e32 v[20:21], v[26:27], v[120:121]
	v_add_f64_e64 v[68:69], v[186:187], -v[162:163]
	v_fma_f64 v[114:115], v[24:25], v[118:119], -v[20:21]
	v_mul_f64_e32 v[20:21], v[24:25], v[120:121]
	s_delay_alu instid0(VALU_DEP_1) | instskip(SKIP_1) | instid1(VALU_DEP_1)
	v_fma_f64 v[212:213], v[26:27], v[118:119], v[20:21]
	v_mul_f64_e32 v[20:21], v[10:11], v[44:45]
	v_fma_f64 v[148:149], v[8:9], v[42:43], -v[20:21]
	v_mul_f64_e32 v[8:9], v[8:9], v[44:45]
	v_add_f64_e32 v[20:21], v[48:49], v[166:167]
	v_add_f64_e32 v[44:45], v[52:53], v[50:51]
	s_delay_alu instid0(VALU_DEP_3) | instskip(SKIP_1) | instid1(VALU_DEP_1)
	v_fma_f64 v[218:219], v[10:11], v[42:43], v[8:9]
	v_mul_f64_e32 v[8:9], v[30:31], v[57:58]
	v_fma_f64 v[150:151], v[28:29], v[55:56], -v[8:9]
	v_mul_f64_e32 v[8:9], v[28:29], v[57:58]
	s_delay_alu instid0(VALU_DEP_1) | instskip(SKIP_1) | instid1(VALU_DEP_1)
	v_fma_f64 v[220:221], v[30:31], v[55:56], v[8:9]
	v_mul_f64_e32 v[8:9], v[14:15], v[61:62]
	v_fma_f64 v[156:157], v[12:13], v[59:60], -v[8:9]
	v_mul_f64_e32 v[8:9], v[12:13], v[61:62]
	s_delay_alu instid0(VALU_DEP_1) | instskip(SKIP_1) | instid1(VALU_DEP_1)
	v_fma_f64 v[222:223], v[14:15], v[59:60], v[8:9]
	v_mul_f64_e32 v[8:9], v[130:131], v[40:41]
	v_fma_f64 v[160:161], v[128:129], v[38:39], -v[8:9]
	v_mul_f64_e32 v[8:9], v[128:129], v[40:41]
	s_delay_alu instid0(VALU_DEP_1) | instskip(SKIP_2) | instid1(VALU_DEP_2)
	v_fma_f64 v[226:227], v[130:131], v[38:39], v[8:9]
	v_mul_f64_e32 v[8:9], v[18:19], v[36:37]
	v_add_f64_e64 v[130:131], v[190:191], -v[206:207]
	v_fma_f64 v[158:159], v[16:17], v[34:35], -v[8:9]
	v_mul_f64_e32 v[8:9], v[16:17], v[36:37]
	s_delay_alu instid0(VALU_DEP_2) | instskip(NEXT) | instid1(VALU_DEP_2)
	v_add_f64_e64 v[242:243], v[150:151], -v[158:159]
	v_fma_f64 v[224:225], v[18:19], v[34:35], v[8:9]
	v_mul_f64_e32 v[8:9], v[154:155], v[65:66]
	s_delay_alu instid0(VALU_DEP_2) | instskip(NEXT) | instid1(VALU_DEP_2)
	v_add_f64_e64 v[246:247], v[220:221], -v[224:225]
	v_fma_f64 v[116:117], v[152:153], v[63:64], -v[8:9]
	v_mul_f64_e32 v[8:9], v[152:153], v[65:66]
	v_add_f64_e32 v[66:67], v[192:193], v[208:209]
	s_delay_alu instid0(VALU_DEP_3) | instskip(NEXT) | instid1(VALU_DEP_3)
	v_add_f64_e64 v[240:241], v[148:149], -v[116:117]
	v_fma_f64 v[152:153], v[154:155], v[63:64], v[8:9]
	v_mul_f64_e32 v[8:9], v[138:139], v[124:125]
	v_add_f64_e64 v[62:63], v[178:179], -v[164:165]
	v_add_f64_e64 v[64:65], v[176:177], -v[180:181]
	s_delay_alu instid0(VALU_DEP_4) | instskip(NEXT) | instid1(VALU_DEP_4)
	v_add_f64_e64 v[244:245], v[218:219], -v[152:153]
	v_fma_f64 v[98:99], v[136:137], v[122:123], -v[8:9]
	v_mul_f64_e32 v[8:9], v[136:137], v[124:125]
	s_delay_alu instid0(VALU_DEP_2) | instskip(NEXT) | instid1(VALU_DEP_2)
	v_add_f64_e64 v[238:239], v[114:115], -v[98:99]
	v_fma_f64 v[230:231], v[138:139], v[122:123], v[8:9]
	v_mul_f64_e32 v[8:9], v[142:143], v[104:105]
	s_delay_alu instid0(VALU_DEP_1) | instskip(SKIP_2) | instid1(VALU_DEP_2)
	v_fma_f64 v[216:217], v[140:141], v[102:103], -v[8:9]
	v_mul_f64_e32 v[8:9], v[140:141], v[104:105]
	v_mul_f64_e32 v[140:141], s[36:37], v[132:133]
	v_fma_f64 v[228:229], v[142:143], v[102:103], v[8:9]
	v_mul_f64_e32 v[8:9], v[146:147], v[112:113]
	v_mul_f64_e32 v[142:143], s[36:37], v[134:135]
	s_delay_alu instid0(VALU_DEP_3) | instskip(NEXT) | instid1(VALU_DEP_3)
	v_add_f64_e64 v[234:235], v[96:97], -v[228:229]
	v_fma_f64 v[154:155], v[144:145], v[110:111], -v[8:9]
	v_mul_f64_e32 v[8:9], v[144:145], v[112:113]
	s_delay_alu instid0(VALU_DEP_3) | instskip(NEXT) | instid1(VALU_DEP_3)
	v_mul_f64_e32 v[248:249], s[24:25], v[234:235]
	v_add_f64_e64 v[214:215], v[210:211], -v[154:155]
	s_delay_alu instid0(VALU_DEP_3) | instskip(SKIP_2) | instid1(VALU_DEP_4)
	v_fma_f64 v[146:147], v[146:147], v[110:111], v[8:9]
	v_add_f64_e64 v[8:9], v[52:53], -v[50:51]
	v_mul_f64_e32 v[250:251], s[36:37], v[234:235]
	v_mul_f64_e32 v[252:253], s[30:31], v[214:215]
	s_delay_alu instid0(VALU_DEP_3)
	v_mul_f64_e32 v[10:11], s[34:35], v[8:9]
	v_mul_f64_e32 v[12:13], s[30:31], v[8:9]
	;; [unrolled: 1-line block ×6, first 2 shown]
	v_fma_f64 v[22:23], v[20:21], s[22:23], -v[10:11]
	v_fma_f64 v[10:11], v[20:21], s[22:23], v[10:11]
	v_fma_f64 v[24:25], v[20:21], s[20:21], -v[12:13]
	v_fma_f64 v[12:13], v[20:21], s[20:21], v[12:13]
	;; [unrolled: 2-line block ×3, first 2 shown]
	s_wait_alu 0xfffe
	v_fma_f64 v[28:29], v[20:21], s[14:15], -v[16:17]
	v_fma_f64 v[16:17], v[20:21], s[14:15], v[16:17]
	v_fma_f64 v[30:31], v[20:21], s[12:13], -v[18:19]
	v_fma_f64 v[18:19], v[20:21], s[12:13], v[18:19]
	;; [unrolled: 2-line block ×3, first 2 shown]
	v_add_f64_e64 v[20:21], v[48:49], -v[166:167]
	v_add_f64_e32 v[22:23], v[4:5], v[22:23]
	v_add_f64_e32 v[10:11], v[4:5], v[10:11]
	;; [unrolled: 1-line block ×10, first 2 shown]
	v_mul_f64_e32 v[16:17], s[28:29], v[62:63]
	v_mul_f64_e32 v[34:35], s[34:35], v[20:21]
	;; [unrolled: 1-line block ×7, first 2 shown]
	v_fma_f64 v[46:47], v[44:45], s[22:23], v[34:35]
	v_fma_f64 v[34:35], v[44:45], s[22:23], -v[34:35]
	v_fma_f64 v[50:51], v[44:45], s[20:21], v[36:37]
	v_fma_f64 v[36:37], v[44:45], s[20:21], -v[36:37]
	;; [unrolled: 2-line block ×6, first 2 shown]
	v_add_f64_e32 v[44:45], v[4:5], v[48:49]
	v_add_f64_e32 v[48:49], v[184:185], v[188:189]
	;; [unrolled: 1-line block ×11, first 2 shown]
	v_add_f64_e64 v[58:59], v[172:173], -v[168:169]
	v_add_f64_e32 v[42:43], v[172:173], v[168:169]
	scratch_store_b64 off, v[44:45], off offset:544 ; 8-byte Folded Spill
	v_add_f64_e32 v[44:45], v[6:7], v[52:53]
	v_add_f64_e32 v[52:53], v[6:7], v[60:61]
	v_add_f64_e64 v[60:61], v[170:171], -v[174:175]
	v_add_f64_e32 v[36:37], v[4:5], v[8:9]
	v_add_f64_e32 v[38:39], v[6:7], v[20:21]
	;; [unrolled: 1-line block ×6, first 2 shown]
	v_mul_f64_e32 v[8:9], s[30:31], v[58:59]
	scratch_store_b64 off, v[44:45], off offset:560 ; 8-byte Folded Spill
	v_add_f64_e32 v[44:45], v[6:7], v[46:47]
	v_mul_f64_e32 v[14:15], s[30:31], v[60:61]
	v_add_f64_e32 v[46:47], v[178:179], v[164:165]
	v_fma_f64 v[4:5], v[40:41], s[20:21], -v[8:9]
	v_fma_f64 v[8:9], v[40:41], s[20:21], v[8:9]
	s_delay_alu instid0(VALU_DEP_4) | instskip(NEXT) | instid1(VALU_DEP_3)
	v_fma_f64 v[6:7], v[42:43], s[20:21], v[14:15]
	v_add_f64_e32 v[4:5], v[4:5], v[22:23]
	s_delay_alu instid0(VALU_DEP_3) | instskip(SKIP_1) | instid1(VALU_DEP_4)
	v_add_f64_e32 v[8:9], v[8:9], v[10:11]
	v_fma_f64 v[10:11], v[42:43], s[20:21], -v[14:15]
	v_add_f64_e32 v[6:7], v[6:7], v[44:45]
	v_add_f64_e32 v[44:45], v[176:177], v[180:181]
	s_delay_alu instid0(VALU_DEP_3) | instskip(NEXT) | instid1(VALU_DEP_2)
	v_add_f64_e32 v[10:11], v[10:11], v[34:35]
	v_fma_f64 v[18:19], v[44:45], s[18:19], -v[16:17]
	v_fma_f64 v[14:15], v[44:45], s[18:19], v[16:17]
	s_delay_alu instid0(VALU_DEP_2) | instskip(SKIP_1) | instid1(VALU_DEP_3)
	v_add_f64_e32 v[4:5], v[18:19], v[4:5]
	v_mul_f64_e32 v[18:19], s[28:29], v[64:65]
	v_add_f64_e32 v[8:9], v[14:15], v[8:9]
	s_delay_alu instid0(VALU_DEP_2) | instskip(SKIP_1) | instid1(VALU_DEP_2)
	v_fma_f64 v[20:21], v[46:47], s[18:19], v[18:19]
	v_fma_f64 v[14:15], v[46:47], s[18:19], -v[18:19]
	v_add_f64_e32 v[6:7], v[20:21], v[6:7]
	v_mul_f64_e32 v[20:21], s[24:25], v[68:69]
	s_delay_alu instid0(VALU_DEP_3) | instskip(NEXT) | instid1(VALU_DEP_2)
	v_add_f64_e32 v[10:11], v[14:15], v[10:11]
	v_fma_f64 v[22:23], v[48:49], s[14:15], -v[20:21]
	v_fma_f64 v[14:15], v[48:49], s[14:15], v[20:21]
	v_mul_f64_e32 v[20:21], s[24:25], v[60:61]
	s_delay_alu instid0(VALU_DEP_3) | instskip(SKIP_1) | instid1(VALU_DEP_4)
	v_add_f64_e32 v[4:5], v[22:23], v[4:5]
	v_mul_f64_e32 v[22:23], s[24:25], v[72:73]
	v_add_f64_e32 v[8:9], v[14:15], v[8:9]
	s_delay_alu instid0(VALU_DEP_4) | instskip(NEXT) | instid1(VALU_DEP_3)
	v_fma_f64 v[18:19], v[42:43], s[14:15], v[20:21]
	v_fma_f64 v[30:31], v[50:51], s[14:15], v[22:23]
	v_fma_f64 v[14:15], v[50:51], s[14:15], -v[22:23]
	v_mul_f64_e32 v[22:23], s[36:37], v[62:63]
	s_delay_alu instid0(VALU_DEP_4) | instskip(NEXT) | instid1(VALU_DEP_4)
	v_add_f64_e32 v[18:19], v[18:19], v[80:81]
	v_add_f64_e32 v[6:7], v[30:31], v[6:7]
	v_mul_f64_e32 v[30:31], s[26:27], v[76:77]
	v_add_f64_e32 v[10:11], v[14:15], v[10:11]
	s_delay_alu instid0(VALU_DEP_2) | instskip(SKIP_1) | instid1(VALU_DEP_2)
	v_fma_f64 v[32:33], v[54:55], s[12:13], -v[30:31]
	v_fma_f64 v[14:15], v[54:55], s[12:13], v[30:31]
	v_add_f64_e32 v[4:5], v[32:33], v[4:5]
	v_mul_f64_e32 v[32:33], s[26:27], v[130:131]
	s_delay_alu instid0(VALU_DEP_3) | instskip(NEXT) | instid1(VALU_DEP_2)
	v_add_f64_e32 v[8:9], v[14:15], v[8:9]
	v_fma_f64 v[70:71], v[66:67], s[12:13], v[32:33]
	v_fma_f64 v[14:15], v[66:67], s[12:13], -v[32:33]
	s_delay_alu instid0(VALU_DEP_2) | instskip(SKIP_1) | instid1(VALU_DEP_3)
	v_add_f64_e32 v[6:7], v[70:71], v[6:7]
	v_add_f64_e32 v[70:71], v[194:195], v[198:199]
	;; [unrolled: 1-line block ×3, first 2 shown]
	s_delay_alu instid0(VALU_DEP_2) | instskip(SKIP_1) | instid1(VALU_DEP_2)
	v_fma_f64 v[128:129], v[70:71], s[10:11], -v[140:141]
	v_fma_f64 v[14:15], v[70:71], s[10:11], v[140:141]
	v_add_f64_e32 v[4:5], v[128:129], v[4:5]
	v_add_f64_e32 v[128:129], v[196:197], v[204:205]
	s_delay_alu instid0(VALU_DEP_3) | instskip(SKIP_1) | instid1(VALU_DEP_3)
	v_add_f64_e32 v[8:9], v[14:15], v[8:9]
	v_mul_f64_e32 v[14:15], s[24:25], v[58:59]
	v_fma_f64 v[16:17], v[128:129], s[10:11], -v[142:143]
	v_fma_f64 v[144:145], v[128:129], s[10:11], v[142:143]
	s_delay_alu instid0(VALU_DEP_2) | instskip(NEXT) | instid1(VALU_DEP_4)
	v_add_f64_e32 v[10:11], v[16:17], v[10:11]
	v_fma_f64 v[16:17], v[40:41], s[14:15], -v[14:15]
	v_fma_f64 v[14:15], v[40:41], s[14:15], v[14:15]
	s_delay_alu instid0(VALU_DEP_4) | instskip(NEXT) | instid1(VALU_DEP_3)
	v_add_f64_e32 v[6:7], v[144:145], v[6:7]
	v_add_f64_e32 v[16:17], v[16:17], v[24:25]
	v_fma_f64 v[24:25], v[44:45], s[10:11], -v[22:23]
	s_delay_alu instid0(VALU_DEP_4) | instskip(SKIP_2) | instid1(VALU_DEP_4)
	v_add_f64_e32 v[12:13], v[14:15], v[12:13]
	v_fma_f64 v[14:15], v[42:43], s[14:15], -v[20:21]
	v_fma_f64 v[20:21], v[44:45], s[10:11], v[22:23]
	v_add_f64_e32 v[16:17], v[24:25], v[16:17]
	v_mul_f64_e32 v[24:25], s[36:37], v[64:65]
	s_delay_alu instid0(VALU_DEP_4) | instskip(NEXT) | instid1(VALU_DEP_4)
	v_add_f64_e32 v[14:15], v[14:15], v[82:83]
	v_add_f64_e32 v[12:13], v[20:21], v[12:13]
	v_mul_f64_e32 v[82:83], s[40:41], v[72:73]
	s_delay_alu instid0(VALU_DEP_4) | instskip(SKIP_1) | instid1(VALU_DEP_2)
	v_fma_f64 v[30:31], v[46:47], s[10:11], v[24:25]
	v_fma_f64 v[20:21], v[46:47], s[10:11], -v[24:25]
	v_add_f64_e32 v[18:19], v[30:31], v[18:19]
	v_mul_f64_e32 v[30:31], s[42:43], v[68:69]
	s_delay_alu instid0(VALU_DEP_3) | instskip(NEXT) | instid1(VALU_DEP_2)
	v_add_f64_e32 v[14:15], v[20:21], v[14:15]
	v_fma_f64 v[32:33], v[48:49], s[12:13], -v[30:31]
	v_fma_f64 v[20:21], v[48:49], s[12:13], v[30:31]
	v_mul_f64_e32 v[30:31], s[36:37], v[60:61]
	s_delay_alu instid0(VALU_DEP_3) | instskip(SKIP_1) | instid1(VALU_DEP_4)
	v_add_f64_e32 v[16:17], v[32:33], v[16:17]
	v_mul_f64_e32 v[32:33], s[42:43], v[72:73]
	v_add_f64_e32 v[12:13], v[20:21], v[12:13]
	s_delay_alu instid0(VALU_DEP_4) | instskip(SKIP_1) | instid1(VALU_DEP_4)
	v_fma_f64 v[24:25], v[42:43], s[10:11], v[30:31]
	v_fma_f64 v[30:31], v[42:43], s[10:11], -v[30:31]
	v_fma_f64 v[34:35], v[50:51], s[12:13], v[32:33]
	v_fma_f64 v[20:21], v[50:51], s[12:13], -v[32:33]
	v_mul_f64_e32 v[32:33], s[44:45], v[62:63]
	v_add_f64_e32 v[24:25], v[24:25], v[84:85]
	v_mul_f64_e32 v[84:85], s[30:31], v[76:77]
	v_add_f64_e32 v[30:31], v[30:31], v[88:89]
	v_mul_f64_e32 v[88:89], s[28:29], v[72:73]
	v_add_f64_e32 v[18:19], v[34:35], v[18:19]
	v_mul_f64_e32 v[34:35], s[38:39], v[76:77]
	v_add_f64_e32 v[14:15], v[20:21], v[14:15]
	s_delay_alu instid0(VALU_DEP_2) | instskip(SKIP_2) | instid1(VALU_DEP_3)
	v_fma_f64 v[80:81], v[54:55], s[18:19], -v[34:35]
	v_fma_f64 v[20:21], v[54:55], s[18:19], v[34:35]
	v_mul_f64_e32 v[34:35], s[44:45], v[64:65]
	v_add_f64_e32 v[16:17], v[80:81], v[16:17]
	v_mul_f64_e32 v[80:81], s[38:39], v[130:131]
	s_delay_alu instid0(VALU_DEP_4) | instskip(NEXT) | instid1(VALU_DEP_2)
	v_add_f64_e32 v[12:13], v[20:21], v[12:13]
	v_fma_f64 v[140:141], v[66:67], s[18:19], v[80:81]
	v_fma_f64 v[20:21], v[66:67], s[18:19], -v[80:81]
	v_mul_f64_e32 v[80:81], s[40:41], v[68:69]
	s_delay_alu instid0(VALU_DEP_3) | instskip(SKIP_1) | instid1(VALU_DEP_4)
	v_add_f64_e32 v[18:19], v[140:141], v[18:19]
	v_mul_f64_e32 v[140:141], s[40:41], v[132:133]
	v_add_f64_e32 v[14:15], v[20:21], v[14:15]
	s_delay_alu instid0(VALU_DEP_2) | instskip(SKIP_2) | instid1(VALU_DEP_3)
	v_fma_f64 v[142:143], v[70:71], s[22:23], -v[140:141]
	v_fma_f64 v[20:21], v[70:71], s[22:23], v[140:141]
	v_mul_f64_e32 v[140:141], s[30:31], v[130:131]
	v_add_f64_e32 v[16:17], v[142:143], v[16:17]
	v_mul_f64_e32 v[142:143], s[40:41], v[134:135]
	s_delay_alu instid0(VALU_DEP_4) | instskip(SKIP_1) | instid1(VALU_DEP_3)
	v_add_f64_e32 v[12:13], v[20:21], v[12:13]
	v_mul_f64_e32 v[20:21], s[36:37], v[58:59]
	v_fma_f64 v[22:23], v[128:129], s[22:23], -v[142:143]
	v_fma_f64 v[144:145], v[128:129], s[22:23], v[142:143]
	v_mul_f64_e32 v[142:143], s[26:27], v[132:133]
	s_delay_alu instid0(VALU_DEP_3) | instskip(SKIP_3) | instid1(VALU_DEP_3)
	v_add_f64_e32 v[14:15], v[22:23], v[14:15]
	v_fma_f64 v[22:23], v[40:41], s[10:11], -v[20:21]
	v_fma_f64 v[20:21], v[40:41], s[10:11], v[20:21]
	v_add_f64_e32 v[18:19], v[144:145], v[18:19]
	v_add_f64_e32 v[22:23], v[22:23], v[26:27]
	v_fma_f64 v[26:27], v[44:45], s[14:15], -v[32:33]
	s_delay_alu instid0(VALU_DEP_4) | instskip(SKIP_2) | instid1(VALU_DEP_4)
	v_add_f64_e32 v[20:21], v[20:21], v[86:87]
	v_fma_f64 v[32:33], v[44:45], s[14:15], v[32:33]
	v_mul_f64_e32 v[86:87], s[28:29], v[68:69]
	v_add_f64_e32 v[22:23], v[26:27], v[22:23]
	v_fma_f64 v[26:27], v[46:47], s[14:15], v[34:35]
	s_delay_alu instid0(VALU_DEP_4) | instskip(SKIP_1) | instid1(VALU_DEP_3)
	v_add_f64_e32 v[20:21], v[32:33], v[20:21]
	v_fma_f64 v[32:33], v[46:47], s[14:15], -v[34:35]
	v_add_f64_e32 v[24:25], v[26:27], v[24:25]
	v_fma_f64 v[26:27], v[48:49], s[22:23], -v[80:81]
	s_delay_alu instid0(VALU_DEP_3) | instskip(SKIP_2) | instid1(VALU_DEP_4)
	v_add_f64_e32 v[30:31], v[32:33], v[30:31]
	v_fma_f64 v[32:33], v[48:49], s[22:23], v[80:81]
	v_mul_f64_e32 v[80:81], s[42:43], v[60:61]
	v_add_f64_e32 v[22:23], v[26:27], v[22:23]
	v_fma_f64 v[26:27], v[50:51], s[22:23], v[82:83]
	s_delay_alu instid0(VALU_DEP_4) | instskip(SKIP_2) | instid1(VALU_DEP_4)
	v_add_f64_e32 v[20:21], v[32:33], v[20:21]
	v_fma_f64 v[32:33], v[50:51], s[22:23], -v[82:83]
	v_mul_f64_e32 v[82:83], s[40:41], v[62:63]
	v_add_f64_e32 v[24:25], v[26:27], v[24:25]
	v_fma_f64 v[26:27], v[54:55], s[20:21], -v[84:85]
	s_delay_alu instid0(VALU_DEP_4)
	v_add_f64_e32 v[30:31], v[32:33], v[30:31]
	v_fma_f64 v[32:33], v[54:55], s[20:21], v[84:85]
	v_fma_f64 v[34:35], v[44:45], s[22:23], -v[82:83]
	v_mul_f64_e32 v[84:85], s[40:41], v[64:65]
	v_fma_f64 v[82:83], v[44:45], s[22:23], v[82:83]
	v_add_f64_e32 v[22:23], v[26:27], v[22:23]
	v_fma_f64 v[26:27], v[66:67], s[20:21], v[140:141]
	v_add_f64_e32 v[20:21], v[32:33], v[20:21]
	v_fma_f64 v[32:33], v[66:67], s[20:21], -v[140:141]
	v_mul_f64_e32 v[140:141], s[48:49], v[130:131]
	s_delay_alu instid0(VALU_DEP_4) | instskip(SKIP_1) | instid1(VALU_DEP_4)
	v_add_f64_e32 v[26:27], v[26:27], v[24:25]
	v_fma_f64 v[24:25], v[70:71], s[12:13], -v[142:143]
	v_add_f64_e32 v[30:31], v[32:33], v[30:31]
	v_fma_f64 v[32:33], v[70:71], s[12:13], v[142:143]
	v_mul_f64_e32 v[142:143], s[46:47], v[132:133]
	s_delay_alu instid0(VALU_DEP_4) | instskip(SKIP_1) | instid1(VALU_DEP_4)
	v_add_f64_e32 v[24:25], v[24:25], v[22:23]
	v_mul_f64_e32 v[22:23], s[26:27], v[134:135]
	v_add_f64_e32 v[20:21], v[32:33], v[20:21]
	s_delay_alu instid0(VALU_DEP_2) | instskip(SKIP_1) | instid1(VALU_DEP_2)
	v_fma_f64 v[144:145], v[128:129], s[12:13], v[22:23]
	v_fma_f64 v[22:23], v[128:129], s[12:13], -v[22:23]
	v_add_f64_e32 v[26:27], v[144:145], v[26:27]
	s_delay_alu instid0(VALU_DEP_2) | instskip(SKIP_1) | instid1(VALU_DEP_1)
	v_add_f64_e32 v[22:23], v[22:23], v[30:31]
	v_mul_f64_e32 v[30:31], s[42:43], v[58:59]
	v_fma_f64 v[32:33], v[40:41], s[12:13], -v[30:31]
	v_fma_f64 v[30:31], v[40:41], s[12:13], v[30:31]
	s_delay_alu instid0(VALU_DEP_2) | instskip(SKIP_1) | instid1(VALU_DEP_3)
	v_add_f64_e32 v[28:29], v[32:33], v[28:29]
	v_fma_f64 v[32:33], v[42:43], s[12:13], v[80:81]
	v_add_f64_e32 v[30:31], v[30:31], v[92:93]
	v_fma_f64 v[80:81], v[42:43], s[12:13], -v[80:81]
	s_delay_alu instid0(VALU_DEP_4) | instskip(NEXT) | instid1(VALU_DEP_4)
	v_add_f64_e32 v[28:29], v[34:35], v[28:29]
	v_add_f64_e32 v[32:33], v[32:33], v[90:91]
	v_fma_f64 v[34:35], v[46:47], s[22:23], v[84:85]
	v_mul_f64_e32 v[90:91], s[48:49], v[76:77]
	v_add_f64_e32 v[80:81], v[80:81], v[94:95]
	v_add_f64_e32 v[30:31], v[82:83], v[30:31]
	v_fma_f64 v[82:83], v[46:47], s[22:23], -v[84:85]
	v_add_f64_e32 v[32:33], v[34:35], v[32:33]
	v_fma_f64 v[34:35], v[48:49], s[18:19], -v[86:87]
	s_delay_alu instid0(VALU_DEP_3)
	v_add_f64_e32 v[80:81], v[82:83], v[80:81]
	v_fma_f64 v[82:83], v[48:49], s[18:19], v[86:87]
	v_mul_f64_e32 v[86:87], s[38:39], v[60:61]
	v_mul_f64_e32 v[60:61], s[40:41], v[60:61]
	v_add_f64_e32 v[28:29], v[34:35], v[28:29]
	v_fma_f64 v[34:35], v[50:51], s[18:19], v[88:89]
	v_add_f64_e32 v[30:31], v[82:83], v[30:31]
	v_fma_f64 v[82:83], v[50:51], s[18:19], -v[88:89]
	v_mul_f64_e32 v[88:89], s[30:31], v[62:63]
	v_mul_f64_e32 v[62:63], s[26:27], v[62:63]
	v_add_f64_e32 v[32:33], v[34:35], v[32:33]
	v_fma_f64 v[34:35], v[54:55], s[10:11], -v[90:91]
	v_add_f64_e32 v[80:81], v[82:83], v[80:81]
	v_fma_f64 v[82:83], v[54:55], s[10:11], v[90:91]
	v_fma_f64 v[90:91], v[44:45], s[20:21], -v[88:89]
	s_delay_alu instid0(VALU_DEP_4) | instskip(SKIP_1) | instid1(VALU_DEP_4)
	v_add_f64_e32 v[28:29], v[34:35], v[28:29]
	v_fma_f64 v[34:35], v[66:67], s[10:11], v[140:141]
	v_add_f64_e32 v[30:31], v[82:83], v[30:31]
	v_fma_f64 v[82:83], v[66:67], s[10:11], -v[140:141]
	s_delay_alu instid0(VALU_DEP_3) | instskip(SKIP_1) | instid1(VALU_DEP_3)
	v_add_f64_e32 v[34:35], v[34:35], v[32:33]
	v_fma_f64 v[32:33], v[70:71], s[20:21], -v[142:143]
	v_add_f64_e32 v[80:81], v[82:83], v[80:81]
	v_fma_f64 v[82:83], v[70:71], s[20:21], v[142:143]
	s_delay_alu instid0(VALU_DEP_3) | instskip(SKIP_1) | instid1(VALU_DEP_1)
	v_add_f64_e32 v[32:33], v[32:33], v[28:29]
	v_mul_f64_e32 v[28:29], s[46:47], v[134:135]
	v_fma_f64 v[84:85], v[128:129], s[20:21], -v[28:29]
	v_fma_f64 v[144:145], v[128:129], s[20:21], v[28:29]
	v_add_f64_e32 v[28:29], v[82:83], v[30:31]
	v_fma_f64 v[82:83], v[42:43], s[18:19], v[86:87]
	s_delay_alu instid0(VALU_DEP_4) | instskip(SKIP_2) | instid1(VALU_DEP_4)
	v_add_f64_e32 v[30:31], v[84:85], v[80:81]
	v_mul_f64_e32 v[84:85], s[38:39], v[58:59]
	v_mul_f64_e32 v[58:59], s[40:41], v[58:59]
	v_add_f64_e32 v[82:83], v[82:83], v[138:139]
	v_add_f64_e32 v[34:35], v[144:145], v[34:35]
	s_delay_alu instid0(VALU_DEP_4) | instskip(SKIP_1) | instid1(VALU_DEP_2)
	v_fma_f64 v[80:81], v[40:41], s[18:19], -v[84:85]
	v_fma_f64 v[84:85], v[40:41], s[18:19], v[84:85]
	v_add_f64_e32 v[80:81], v[80:81], v[136:137]
	s_delay_alu instid0(VALU_DEP_2) | instskip(SKIP_1) | instid1(VALU_DEP_3)
	v_add_f64_e32 v[78:79], v[84:85], v[78:79]
	v_fma_f64 v[84:85], v[42:43], s[18:19], -v[86:87]
	v_add_f64_e32 v[80:81], v[90:91], v[80:81]
	v_mul_f64_e32 v[90:91], s[30:31], v[64:65]
	s_delay_alu instid0(VALU_DEP_3) | instskip(SKIP_2) | instid1(VALU_DEP_4)
	v_add_f64_e32 v[74:75], v[84:85], v[74:75]
	v_fma_f64 v[84:85], v[44:45], s[20:21], v[88:89]
	v_mul_f64_e32 v[64:65], s[26:27], v[64:65]
	v_fma_f64 v[92:93], v[46:47], s[20:21], v[90:91]
	s_delay_alu instid0(VALU_DEP_3) | instskip(SKIP_1) | instid1(VALU_DEP_3)
	v_add_f64_e32 v[78:79], v[84:85], v[78:79]
	v_fma_f64 v[84:85], v[46:47], s[20:21], -v[90:91]
	v_add_f64_e32 v[82:83], v[92:93], v[82:83]
	v_mul_f64_e32 v[92:93], s[48:49], v[68:69]
	v_mul_f64_e32 v[68:69], s[46:47], v[68:69]
	s_delay_alu instid0(VALU_DEP_4) | instskip(NEXT) | instid1(VALU_DEP_3)
	v_add_f64_e32 v[74:75], v[84:85], v[74:75]
	v_fma_f64 v[94:95], v[48:49], s[10:11], -v[92:93]
	v_fma_f64 v[84:85], v[48:49], s[10:11], v[92:93]
	v_mul_f64_e32 v[92:93], s[38:39], v[134:135]
	s_delay_alu instid0(VALU_DEP_3) | instskip(SKIP_1) | instid1(VALU_DEP_4)
	v_add_f64_e32 v[80:81], v[94:95], v[80:81]
	v_mul_f64_e32 v[94:95], s[48:49], v[72:73]
	v_add_f64_e32 v[78:79], v[84:85], v[78:79]
	v_mul_f64_e32 v[72:73], s[46:47], v[72:73]
	s_delay_alu instid0(VALU_DEP_3) | instskip(SKIP_1) | instid1(VALU_DEP_2)
	v_fma_f64 v[136:137], v[50:51], s[10:11], v[94:95]
	v_fma_f64 v[84:85], v[50:51], s[10:11], -v[94:95]
	v_add_f64_e32 v[82:83], v[136:137], v[82:83]
	v_mul_f64_e32 v[136:137], s[40:41], v[76:77]
	s_delay_alu instid0(VALU_DEP_3) | instskip(NEXT) | instid1(VALU_DEP_2)
	v_add_f64_e32 v[74:75], v[84:85], v[74:75]
	v_fma_f64 v[138:139], v[54:55], s[22:23], -v[136:137]
	v_fma_f64 v[84:85], v[54:55], s[22:23], v[136:137]
	s_delay_alu instid0(VALU_DEP_2) | instskip(SKIP_1) | instid1(VALU_DEP_3)
	v_add_f64_e32 v[80:81], v[138:139], v[80:81]
	v_mul_f64_e32 v[138:139], s[40:41], v[130:131]
	v_add_f64_e32 v[78:79], v[84:85], v[78:79]
	s_delay_alu instid0(VALU_DEP_2) | instskip(SKIP_2) | instid1(VALU_DEP_3)
	v_fma_f64 v[140:141], v[66:67], s[22:23], v[138:139]
	v_fma_f64 v[84:85], v[66:67], s[22:23], -v[138:139]
	v_add_f64_e32 v[138:139], v[148:149], v[116:117]
	v_add_f64_e32 v[82:83], v[140:141], v[82:83]
	v_mul_f64_e32 v[140:141], s[24:25], v[132:133]
	s_delay_alu instid0(VALU_DEP_4) | instskip(NEXT) | instid1(VALU_DEP_2)
	v_add_f64_e32 v[74:75], v[84:85], v[74:75]
	v_fma_f64 v[142:143], v[70:71], s[14:15], -v[140:141]
	v_fma_f64 v[84:85], v[70:71], s[14:15], v[140:141]
	v_add_f64_e64 v[140:141], v[236:237], -v[146:147]
	s_delay_alu instid0(VALU_DEP_3) | instskip(SKIP_1) | instid1(VALU_DEP_4)
	v_add_f64_e32 v[80:81], v[142:143], v[80:81]
	v_mul_f64_e32 v[142:143], s[24:25], v[134:135]
	v_add_f64_e32 v[84:85], v[84:85], v[78:79]
	s_delay_alu instid0(VALU_DEP_4)
	v_mul_f64_e32 v[136:137], s[34:35], v[140:141]
	v_add_f64_e32 v[134:135], v[114:115], v[98:99]
	v_mul_f64_e32 v[254:255], s[28:29], v[140:141]
	v_fma_f64 v[86:87], v[128:129], s[14:15], -v[142:143]
	v_fma_f64 v[144:145], v[128:129], s[14:15], v[142:143]
	v_add_f64_e32 v[142:143], v[212:213], v[230:231]
	s_delay_alu instid0(VALU_DEP_3)
	v_add_f64_e32 v[86:87], v[86:87], v[74:75]
	v_fma_f64 v[74:75], v[40:41], s[22:23], -v[58:59]
	v_fma_f64 v[40:41], v[40:41], s[22:23], v[58:59]
	v_add_f64_e32 v[82:83], v[144:145], v[82:83]
	v_add_f64_e32 v[144:145], v[236:237], v[146:147]
	v_add_f64_e64 v[236:237], v[232:233], -v[216:217]
	v_add_f64_e32 v[56:57], v[74:75], v[56:57]
	v_fma_f64 v[74:75], v[42:43], s[22:23], v[60:61]
	v_fma_f64 v[42:43], v[42:43], s[22:23], -v[60:61]
	v_add_f64_e32 v[36:37], v[40:41], v[36:37]
	v_fma_f64 v[40:41], v[48:49], s[20:21], v[68:69]
	v_mul_f64_e32 v[60:61], s[40:41], v[240:241]
	v_add_f64_e32 v[52:53], v[74:75], v[52:53]
	v_fma_f64 v[74:75], v[44:45], s[12:13], -v[62:63]
	v_fma_f64 v[44:45], v[44:45], s[12:13], v[62:63]
	v_add_f64_e32 v[38:39], v[42:43], v[38:39]
	v_fma_f64 v[42:43], v[50:51], s[20:21], -v[72:73]
	s_delay_alu instid0(VALU_DEP_4) | instskip(SKIP_3) | instid1(VALU_DEP_3)
	v_add_f64_e32 v[56:57], v[74:75], v[56:57]
	v_fma_f64 v[74:75], v[46:47], s[12:13], v[64:65]
	v_fma_f64 v[46:47], v[46:47], s[12:13], -v[64:65]
	v_add_f64_e32 v[36:37], v[44:45], v[36:37]
	v_add_f64_e32 v[52:53], v[74:75], v[52:53]
	v_fma_f64 v[74:75], v[48:49], s[20:21], -v[68:69]
	s_delay_alu instid0(VALU_DEP_4) | instskip(NEXT) | instid1(VALU_DEP_4)
	v_add_f64_e32 v[38:39], v[46:47], v[38:39]
	v_add_f64_e32 v[36:37], v[40:41], v[36:37]
	v_mul_f64_e32 v[48:49], s[36:37], v[236:237]
	v_mul_f64_e32 v[68:69], s[30:31], v[242:243]
	v_add_f64_e32 v[56:57], v[74:75], v[56:57]
	v_fma_f64 v[74:75], v[50:51], s[20:21], v[72:73]
	v_add_f64_e32 v[38:39], v[42:43], v[38:39]
	v_fma_f64 v[42:43], v[128:129], s[18:19], -v[92:93]
	v_mul_f64_e32 v[50:51], s[42:43], v[240:241]
	s_delay_alu instid0(VALU_DEP_4) | instskip(SKIP_1) | instid1(VALU_DEP_1)
	v_add_f64_e32 v[52:53], v[74:75], v[52:53]
	v_mul_f64_e32 v[74:75], s[24:25], v[76:77]
	v_fma_f64 v[76:77], v[54:55], s[14:15], -v[74:75]
	v_fma_f64 v[44:45], v[54:55], s[14:15], v[74:75]
	v_add_f64_e64 v[74:75], v[212:213], -v[230:231]
	v_mul_f64_e32 v[54:55], s[44:45], v[238:239]
	s_delay_alu instid0(VALU_DEP_4) | instskip(SKIP_3) | instid1(VALU_DEP_3)
	v_add_f64_e32 v[56:57], v[76:77], v[56:57]
	v_mul_f64_e32 v[76:77], s[24:25], v[130:131]
	v_add_f64_e32 v[36:37], v[44:45], v[36:37]
	v_add_f64_e32 v[130:131], v[210:211], v[154:155]
	v_fma_f64 v[78:79], v[66:67], s[14:15], v[76:77]
	v_fma_f64 v[46:47], v[66:67], s[14:15], -v[76:77]
	v_mul_f64_e32 v[76:77], s[40:41], v[238:239]
	s_delay_alu instid0(VALU_DEP_3) | instskip(SKIP_1) | instid1(VALU_DEP_4)
	v_add_f64_e32 v[52:53], v[78:79], v[52:53]
	v_mul_f64_e32 v[78:79], s[38:39], v[132:133]
	v_add_f64_e32 v[38:39], v[46:47], v[38:39]
	v_add_f64_e64 v[46:47], v[156:157], -v[160:161]
	s_delay_alu instid0(VALU_DEP_3) | instskip(SKIP_1) | instid1(VALU_DEP_4)
	v_fma_f64 v[88:89], v[70:71], s[18:19], -v[78:79]
	v_fma_f64 v[40:41], v[70:71], s[18:19], v[78:79]
	v_add_f64_e32 v[94:95], v[42:43], v[38:39]
	v_mul_f64_e32 v[38:39], s[30:31], v[234:235]
	v_mul_f64_e32 v[64:65], s[26:27], v[46:47]
	v_add_f64_e32 v[88:89], v[88:89], v[56:57]
	v_fma_f64 v[56:57], v[128:129], s[18:19], v[92:93]
	v_add_f64_e32 v[92:93], v[40:41], v[36:37]
	v_fma_f64 v[36:37], v[130:131], s[22:23], v[136:137]
	v_add_f64_e32 v[128:129], v[232:233], v[216:217]
	s_clause 0x2
	scratch_store_b64 off, v[38:39], off offset:1120
	scratch_store_b64 off, v[154:155], off offset:1032
	;; [unrolled: 1-line block ×3, first 2 shown]
	v_mul_f64_e32 v[210:211], s[34:35], v[214:215]
	s_clause 0x2
	scratch_store_b64 off, v[146:147], off offset:1064
	scratch_store_b64 off, v[216:217], off offset:1048
	;; [unrolled: 1-line block ×3, first 2 shown]
	v_add_f64_e32 v[216:217], v[96:97], v[228:229]
	v_mul_f64_e32 v[40:41], s[30:31], v[236:237]
	s_clause 0x1
	scratch_store_b64 off, v[96:97], off offset:576
	scratch_store_b64 off, v[228:229], off offset:1088
	v_add_f64_e32 v[146:147], v[218:219], v[152:153]
	v_add_f64_e64 v[232:233], v[222:223], -v[226:227]
	v_add_f64_e32 v[228:229], v[222:223], v[226:227]
	v_mul_f64_e32 v[154:155], s[38:39], v[246:247]
	v_add_f64_e32 v[90:91], v[56:57], v[52:53]
	v_mul_f64_e32 v[56:57], s[38:39], v[242:243]
	v_add_f64_e32 v[36:37], v[0:1], v[36:37]
	v_fma_f64 v[38:39], v[128:129], s[20:21], v[38:39]
	v_mul_f64_e32 v[52:53], s[40:41], v[46:47]
	scratch_store_b64 off, v[40:41], off offset:1168 ; 8-byte Folded Spill
	v_fma_f64 v[40:41], v[216:217], s[20:21], -v[40:41]
	v_add_f64_e32 v[36:37], v[38:39], v[36:37]
	v_fma_f64 v[38:39], v[144:145], s[22:23], -v[210:211]
	s_delay_alu instid0(VALU_DEP_1) | instskip(NEXT) | instid1(VALU_DEP_1)
	v_add_f64_e32 v[38:39], v[2:3], v[38:39]
	v_add_f64_e32 v[38:39], v[40:41], v[38:39]
	v_mul_f64_e32 v[40:41], s[28:29], v[74:75]
	scratch_store_b64 off, v[40:41], off offset:1128 ; 8-byte Folded Spill
	v_fma_f64 v[40:41], v[134:135], s[18:19], v[40:41]
	s_clause 0x3
	scratch_store_b64 off, v[98:99], off offset:592
	scratch_store_b64 off, v[114:115], off offset:608
	;; [unrolled: 1-line block ×4, first 2 shown]
	v_add_f64_e32 v[212:213], v[150:151], v[158:159]
	v_mul_f64_e32 v[230:231], s[24:25], v[214:215]
	v_add_f64_e32 v[36:37], v[40:41], v[36:37]
	v_mul_f64_e32 v[40:41], s[28:29], v[238:239]
	scratch_store_b64 off, v[40:41], off offset:1144 ; 8-byte Folded Spill
	v_fma_f64 v[40:41], v[142:143], s[18:19], -v[40:41]
	s_delay_alu instid0(VALU_DEP_1)
	v_add_f64_e32 v[38:39], v[40:41], v[38:39]
	v_mul_f64_e32 v[40:41], s[24:25], v[244:245]
	scratch_store_b64 off, v[40:41], off offset:1136 ; 8-byte Folded Spill
	v_fma_f64 v[40:41], v[138:139], s[14:15], v[40:41]
	s_clause 0x3
	scratch_store_b64 off, v[116:117], off offset:624
	scratch_store_b64 off, v[148:149], off offset:656
	;; [unrolled: 1-line block ×4, first 2 shown]
	v_mul_f64_e32 v[218:219], s[30:31], v[140:141]
	v_mul_f64_e32 v[148:149], s[36:37], v[74:75]
	;; [unrolled: 1-line block ×3, first 2 shown]
	v_add_f64_e32 v[36:37], v[40:41], v[36:37]
	v_mul_f64_e32 v[40:41], s[24:25], v[240:241]
	scratch_store_b64 off, v[40:41], off offset:1152 ; 8-byte Folded Spill
	v_fma_f64 v[40:41], v[146:147], s[14:15], -v[40:41]
	s_delay_alu instid0(VALU_DEP_1)
	v_add_f64_e32 v[38:39], v[40:41], v[38:39]
	v_mul_f64_e32 v[40:41], s[26:27], v[246:247]
	scratch_store_b64 off, v[40:41], off offset:1160 ; 8-byte Folded Spill
	v_fma_f64 v[40:41], v[212:213], s[12:13], v[40:41]
	s_clause 0x3
	scratch_store_b64 off, v[150:151], off offset:664
	scratch_store_b64 off, v[158:159], off offset:696
	;; [unrolled: 1-line block ×4, first 2 shown]
	v_add_f64_e32 v[220:221], v[220:221], v[224:225]
	v_add_f64_e32 v[224:225], v[156:157], v[160:161]
	v_mul_f64_e32 v[150:151], s[40:41], v[232:233]
	v_mul_f64_e32 v[158:159], s[44:45], v[74:75]
	v_add_f64_e32 v[36:37], v[40:41], v[36:37]
	v_mul_f64_e32 v[40:41], s[26:27], v[242:243]
	scratch_store_b64 off, v[40:41], off offset:1176 ; 8-byte Folded Spill
	v_fma_f64 v[40:41], v[220:221], s[12:13], -v[40:41]
	s_delay_alu instid0(VALU_DEP_1)
	v_add_f64_e32 v[38:39], v[40:41], v[38:39]
	v_mul_f64_e32 v[40:41], s[36:37], v[232:233]
	scratch_store_b64 off, v[40:41], off offset:1184 ; 8-byte Folded Spill
	v_fma_f64 v[40:41], v[224:225], s[10:11], v[40:41]
	s_clause 0x3
	scratch_store_b64 off, v[156:157], off offset:680
	scratch_store_b64 off, v[160:161], off offset:904
	;; [unrolled: 1-line block ×4, first 2 shown]
	v_mul_f64_e32 v[156:157], s[24:25], v[236:237]
	v_mul_f64_e32 v[222:223], s[28:29], v[214:215]
	;; [unrolled: 1-line block ×3, first 2 shown]
	scratch_load_b32 v100, off, off         ; 4-byte Folded Reload
	v_add_f64_e32 v[40:41], v[40:41], v[36:37]
	v_mul_f64_e32 v[36:37], s[36:37], v[46:47]
	scratch_store_b64 off, v[36:37], off offset:1192 ; 8-byte Folded Spill
	v_fma_f64 v[36:37], v[228:229], s[10:11], -v[36:37]
	s_delay_alu instid0(VALU_DEP_1)
	v_add_f64_e32 v[42:43], v[36:37], v[38:39]
	v_fma_f64 v[36:37], v[130:131], s[20:21], v[218:219]
	v_fma_f64 v[38:39], v[128:129], s[14:15], v[248:249]
	scratch_store_b128 off, v[40:43], off offset:108 ; 16-byte Folded Spill
	v_add_f64_e32 v[36:37], v[0:1], v[36:37]
	v_fma_f64 v[40:41], v[216:217], s[14:15], -v[156:157]
	s_delay_alu instid0(VALU_DEP_2) | instskip(SKIP_1) | instid1(VALU_DEP_1)
	v_add_f64_e32 v[36:37], v[38:39], v[36:37]
	v_fma_f64 v[38:39], v[144:145], s[20:21], -v[252:253]
	v_add_f64_e32 v[38:39], v[2:3], v[38:39]
	s_delay_alu instid0(VALU_DEP_1) | instskip(SKIP_1) | instid1(VALU_DEP_1)
	v_add_f64_e32 v[40:41], v[40:41], v[38:39]
	v_fma_f64 v[38:39], v[134:135], s[10:11], v[148:149]
	v_add_f64_e32 v[36:37], v[38:39], v[36:37]
	v_mul_f64_e32 v[38:39], s[36:37], v[238:239]
	s_delay_alu instid0(VALU_DEP_1) | instskip(NEXT) | instid1(VALU_DEP_1)
	v_fma_f64 v[42:43], v[142:143], s[10:11], -v[38:39]
	v_add_f64_e32 v[40:41], v[42:43], v[40:41]
	v_fma_f64 v[42:43], v[138:139], s[12:13], v[152:153]
	s_delay_alu instid0(VALU_DEP_1) | instskip(SKIP_1) | instid1(VALU_DEP_1)
	v_add_f64_e32 v[36:37], v[42:43], v[36:37]
	v_fma_f64 v[42:43], v[146:147], s[12:13], -v[50:51]
	v_add_f64_e32 v[40:41], v[42:43], v[40:41]
	v_fma_f64 v[42:43], v[212:213], s[18:19], v[154:155]
	s_delay_alu instid0(VALU_DEP_1) | instskip(SKIP_1) | instid1(VALU_DEP_1)
	v_add_f64_e32 v[36:37], v[42:43], v[36:37]
	;; [unrolled: 5-line block ×3, first 2 shown]
	v_fma_f64 v[36:37], v[228:229], s[22:23], -v[52:53]
	v_add_f64_e32 v[44:45], v[36:37], v[40:41]
	v_fma_f64 v[36:37], v[130:131], s[18:19], v[254:255]
	v_fma_f64 v[40:41], v[128:129], s[10:11], v[250:251]
	scratch_store_b128 off, v[42:45], off offset:92 ; 16-byte Folded Spill
	v_add_f64_e32 v[36:37], v[0:1], v[36:37]
	v_fma_f64 v[42:43], v[216:217], s[10:11], -v[48:49]
	s_delay_alu instid0(VALU_DEP_2) | instskip(SKIP_1) | instid1(VALU_DEP_1)
	v_add_f64_e32 v[36:37], v[40:41], v[36:37]
	v_fma_f64 v[40:41], v[144:145], s[18:19], -v[222:223]
	v_add_f64_e32 v[40:41], v[2:3], v[40:41]
	s_delay_alu instid0(VALU_DEP_1) | instskip(SKIP_1) | instid1(VALU_DEP_1)
	v_add_f64_e32 v[40:41], v[42:43], v[40:41]
	v_fma_f64 v[42:43], v[134:135], s[14:15], v[158:159]
	v_add_f64_e32 v[36:37], v[42:43], v[36:37]
	v_fma_f64 v[42:43], v[142:143], s[14:15], -v[54:55]
	s_delay_alu instid0(VALU_DEP_1) | instskip(SKIP_1) | instid1(VALU_DEP_1)
	v_add_f64_e32 v[40:41], v[42:43], v[40:41]
	v_mul_f64_e32 v[42:43], s[40:41], v[244:245]
	v_fma_f64 v[44:45], v[138:139], s[22:23], v[42:43]
	s_delay_alu instid0(VALU_DEP_1) | instskip(SKIP_1) | instid1(VALU_DEP_1)
	v_add_f64_e32 v[36:37], v[44:45], v[36:37]
	v_fma_f64 v[44:45], v[146:147], s[22:23], -v[60:61]
	v_add_f64_e32 v[40:41], v[44:45], v[40:41]
	v_mul_f64_e32 v[44:45], s[30:31], v[246:247]
	s_delay_alu instid0(VALU_DEP_1) | instskip(NEXT) | instid1(VALU_DEP_1)
	v_fma_f64 v[58:59], v[212:213], s[20:21], v[44:45]
	v_add_f64_e32 v[58:59], v[58:59], v[36:37]
	v_fma_f64 v[36:37], v[220:221], s[20:21], -v[68:69]
	s_delay_alu instid0(VALU_DEP_1) | instskip(SKIP_1) | instid1(VALU_DEP_1)
	v_add_f64_e32 v[40:41], v[36:37], v[40:41]
	v_mul_f64_e32 v[36:37], s[26:27], v[232:233]
	v_fma_f64 v[62:63], v[224:225], s[12:13], v[36:37]
	s_delay_alu instid0(VALU_DEP_1) | instskip(SKIP_1) | instid1(VALU_DEP_1)
	v_add_f64_e32 v[70:71], v[62:63], v[58:59]
	v_fma_f64 v[58:59], v[228:229], s[12:13], -v[64:65]
	v_add_f64_e32 v[72:73], v[58:59], v[40:41]
	v_fma_f64 v[40:41], v[130:131], s[14:15], v[226:227]
	scratch_store_b128 off, v[70:73], off offset:124 ; 16-byte Folded Spill
	v_add_f64_e32 v[58:59], v[0:1], v[40:41]
	v_mul_f64_e32 v[40:41], s[42:43], v[234:235]
	v_mul_f64_e32 v[72:73], s[42:43], v[236:237]
	s_delay_alu instid0(VALU_DEP_2) | instskip(NEXT) | instid1(VALU_DEP_2)
	v_fma_f64 v[62:63], v[128:129], s[12:13], v[40:41]
	v_fma_f64 v[66:67], v[216:217], s[12:13], -v[72:73]
	s_delay_alu instid0(VALU_DEP_2) | instskip(SKIP_1) | instid1(VALU_DEP_1)
	v_add_f64_e32 v[62:63], v[62:63], v[58:59]
	v_fma_f64 v[58:59], v[144:145], s[14:15], -v[230:231]
	v_add_f64_e32 v[58:59], v[2:3], v[58:59]
	s_delay_alu instid0(VALU_DEP_1) | instskip(SKIP_1) | instid1(VALU_DEP_1)
	v_add_f64_e32 v[66:67], v[66:67], v[58:59]
	v_mul_f64_e32 v[58:59], s[40:41], v[74:75]
	v_fma_f64 v[70:71], v[134:135], s[22:23], v[58:59]
	s_delay_alu instid0(VALU_DEP_1) | instskip(SKIP_1) | instid1(VALU_DEP_1)
	v_add_f64_e32 v[62:63], v[70:71], v[62:63]
	v_fma_f64 v[70:71], v[142:143], s[22:23], -v[76:77]
	v_add_f64_e32 v[70:71], v[70:71], v[66:67]
	v_mul_f64_e32 v[66:67], s[28:29], v[244:245]
	s_delay_alu instid0(VALU_DEP_1) | instskip(NEXT) | instid1(VALU_DEP_1)
	v_fma_f64 v[78:79], v[138:139], s[18:19], v[66:67]
	v_add_f64_e32 v[62:63], v[78:79], v[62:63]
	v_mul_f64_e32 v[78:79], s[28:29], v[240:241]
	s_delay_alu instid0(VALU_DEP_1) | instskip(NEXT) | instid1(VALU_DEP_1)
	v_fma_f64 v[132:133], v[146:147], s[18:19], -v[78:79]
	v_add_f64_e32 v[160:161], v[132:133], v[70:71]
	v_mul_f64_e32 v[70:71], s[48:49], v[246:247]
	s_delay_alu instid0(VALU_DEP_1) | instskip(NEXT) | instid1(VALU_DEP_1)
	v_fma_f64 v[132:133], v[212:213], s[10:11], v[70:71]
	v_add_f64_e32 v[96:97], v[132:133], v[62:63]
	v_mul_f64_e32 v[132:133], s[48:49], v[242:243]
	s_delay_alu instid0(VALU_DEP_1) | instskip(NEXT) | instid1(VALU_DEP_1)
	;; [unrolled: 8-line block ×3, first 2 shown]
	v_fma_f64 v[96:97], v[228:229], s[20:21], -v[160:161]
	v_add_f64_e32 v[116:117], v[96:97], v[98:99]
	s_clause 0x1
	scratch_load_b64 v[96:97], off, off offset:544 th:TH_LOAD_LU
	scratch_load_b64 v[98:99], off, off offset:560 th:TH_LOAD_LU
	s_wait_loadcnt 0x1
	v_add_f64_e32 v[96:97], v[96:97], v[170:171]
	v_mul_f64_e32 v[170:171], s[40:41], v[246:247]
	s_delay_alu instid0(VALU_DEP_2) | instskip(SKIP_1) | instid1(VALU_DEP_2)
	v_add_f64_e32 v[96:97], v[96:97], v[176:177]
	v_mul_f64_e32 v[176:177], s[48:49], v[240:241]
	v_add_f64_e32 v[96:97], v[96:97], v[184:185]
	s_delay_alu instid0(VALU_DEP_1) | instskip(NEXT) | instid1(VALU_DEP_1)
	v_add_f64_e32 v[96:97], v[96:97], v[190:191]
	v_add_f64_e32 v[96:97], v[96:97], v[194:195]
	s_delay_alu instid0(VALU_DEP_1) | instskip(NEXT) | instid1(VALU_DEP_1)
	v_add_f64_e32 v[96:97], v[96:97], v[198:199]
	v_add_f64_e32 v[96:97], v[96:97], v[206:207]
	s_delay_alu instid0(VALU_DEP_1) | instskip(SKIP_1) | instid1(VALU_DEP_2)
	v_add_f64_e32 v[96:97], v[96:97], v[188:189]
	v_mul_f64_e32 v[188:189], s[26:27], v[214:215]
	v_add_f64_e32 v[96:97], v[96:97], v[180:181]
	v_mul_f64_e32 v[180:181], s[40:41], v[242:243]
	s_delay_alu instid0(VALU_DEP_2) | instskip(SKIP_1) | instid1(VALU_DEP_2)
	v_add_f64_e32 v[96:97], v[96:97], v[174:175]
	v_mul_f64_e32 v[174:175], s[30:31], v[238:239]
	v_add_f64_e32 v[190:191], v[96:97], v[166:167]
	scratch_load_b64 v[96:97], off, off offset:500 th:TH_LOAD_LU ; 8-byte Folded Reload
	s_wait_loadcnt 0x1
	v_add_f64_e32 v[98:99], v[98:99], v[172:173]
	v_mul_f64_e32 v[172:173], s[38:39], v[236:237]
	s_clause 0x1
	scratch_store_b128 off, v[114:117], off offset:140
	scratch_store_b32 off, v101, off offset:500
	global_wb scope:SCOPE_SE
	s_wait_loadcnt 0x0
	s_wait_storecnt 0x0
	s_barrier_signal -1
	s_barrier_wait -1
	global_inv scope:SCOPE_SE
	v_add_f64_e32 v[98:99], v[98:99], v[178:179]
	s_delay_alu instid0(VALU_DEP_1) | instskip(SKIP_1) | instid1(VALU_DEP_2)
	v_add_f64_e32 v[98:99], v[98:99], v[186:187]
	v_mul_f64_e32 v[186:187], s[26:27], v[140:141]
	v_add_f64_e32 v[98:99], v[98:99], v[192:193]
	s_delay_alu instid0(VALU_DEP_1) | instskip(NEXT) | instid1(VALU_DEP_1)
	v_add_f64_e32 v[98:99], v[98:99], v[196:197]
	v_add_f64_e32 v[98:99], v[98:99], v[204:205]
	s_delay_alu instid0(VALU_DEP_1) | instskip(NEXT) | instid1(VALU_DEP_1)
	v_add_f64_e32 v[98:99], v[98:99], v[208:209]
	v_add_f64_e32 v[98:99], v[98:99], v[162:163]
	v_mul_f64_e32 v[162:163], s[38:39], v[234:235]
	s_delay_alu instid0(VALU_DEP_2) | instskip(SKIP_1) | instid1(VALU_DEP_2)
	v_add_f64_e32 v[98:99], v[98:99], v[164:165]
	v_fma_f64 v[164:165], v[216:217], s[18:19], -v[172:173]
	v_add_f64_e32 v[98:99], v[98:99], v[168:169]
	v_mul_f64_e32 v[168:169], s[48:49], v[244:245]
	s_delay_alu instid0(VALU_DEP_2) | instskip(SKIP_2) | instid1(VALU_DEP_2)
	v_add_f64_e32 v[192:193], v[98:99], v[96:97]
	v_fma_f64 v[96:97], v[130:131], s[12:13], v[186:187]
	v_fma_f64 v[98:99], v[128:129], s[18:19], v[162:163]
	v_add_f64_e32 v[96:97], v[0:1], v[96:97]
	s_delay_alu instid0(VALU_DEP_1) | instskip(SKIP_1) | instid1(VALU_DEP_1)
	v_add_f64_e32 v[96:97], v[98:99], v[96:97]
	v_fma_f64 v[98:99], v[144:145], s[12:13], -v[188:189]
	v_add_f64_e32 v[98:99], v[2:3], v[98:99]
	s_delay_alu instid0(VALU_DEP_1) | instskip(SKIP_1) | instid1(VALU_DEP_1)
	v_add_f64_e32 v[98:99], v[164:165], v[98:99]
	v_mul_f64_e32 v[164:165], s[30:31], v[74:75]
	v_fma_f64 v[166:167], v[134:135], s[20:21], v[164:165]
	s_delay_alu instid0(VALU_DEP_1) | instskip(SKIP_1) | instid1(VALU_DEP_1)
	v_add_f64_e32 v[96:97], v[166:167], v[96:97]
	v_fma_f64 v[166:167], v[142:143], s[20:21], -v[174:175]
	v_add_f64_e32 v[98:99], v[166:167], v[98:99]
	v_fma_f64 v[166:167], v[138:139], s[10:11], v[168:169]
	s_delay_alu instid0(VALU_DEP_1) | instskip(SKIP_1) | instid1(VALU_DEP_1)
	v_add_f64_e32 v[96:97], v[166:167], v[96:97]
	v_fma_f64 v[166:167], v[146:147], s[10:11], -v[176:177]
	v_add_f64_e32 v[98:99], v[166:167], v[98:99]
	;; [unrolled: 5-line block ×3, first 2 shown]
	v_mul_f64_e32 v[166:167], s[24:25], v[232:233]
	s_delay_alu instid0(VALU_DEP_1) | instskip(NEXT) | instid1(VALU_DEP_1)
	v_fma_f64 v[178:179], v[224:225], s[14:15], v[166:167]
	v_add_f64_e32 v[196:197], v[178:179], v[96:97]
	v_mul_f64_e32 v[178:179], s[24:25], v[46:47]
	s_delay_alu instid0(VALU_DEP_1) | instskip(NEXT) | instid1(VALU_DEP_1)
	v_fma_f64 v[96:97], v[228:229], s[14:15], -v[178:179]
	v_add_f64_e32 v[198:199], v[96:97], v[98:99]
	v_lshrrev_b32_e32 v96, 2, v100
	s_delay_alu instid0(VALU_DEP_1) | instskip(NEXT) | instid1(VALU_DEP_1)
	v_mul_u32_u24_e32 v96, 52, v96
	v_or_b32_e32 v96, v96, v101
	s_delay_alu instid0(VALU_DEP_1)
	v_lshlrev_b32_e32 v183, 4, v96
	ds_store_b128 v183, v[16:19] offset:128
	ds_store_b128 v183, v[24:27] offset:192
	ds_store_b128 v183, v[32:35] offset:256
	ds_store_b128 v183, v[80:83] offset:320
	ds_store_b128 v183, v[88:91] offset:384
	ds_store_b128 v183, v[92:95] offset:448
	ds_store_b128 v183, v[84:87] offset:512
	ds_store_b128 v183, v[28:31] offset:576
	ds_store_b128 v183, v[20:23] offset:640
	ds_store_b128 v183, v[12:15] offset:704
	ds_store_b128 v183, v[8:11] offset:768
	ds_store_b128 v183, v[4:7] offset:64
	ds_store_b128 v183, v[190:193]
	scratch_load_b32 v4, off, off offset:540 th:TH_LOAD_LU ; 4-byte Folded Reload
	s_wait_loadcnt 0x0
	v_lshrrev_b32_e32 v4, 2, v4
	scratch_store_b32 off, v4, off offset:540 ; 4-byte Folded Spill
	s_and_saveexec_b32 s1, s0
	s_cbranch_execz .LBB0_15
; %bb.14:
	scratch_load_b64 v[34:35], off, off offset:1112 th:TH_LOAD_LU ; 8-byte Folded Reload
	v_mul_f64_e32 v[12:13], s[14:15], v[144:145]
	v_mul_f64_e32 v[16:17], s[18:19], v[144:145]
	;; [unrolled: 1-line block ×12, first 2 shown]
	v_add_f64_e32 v[32:33], v[2:3], v[126:127]
	v_mul_f64_e32 v[92:93], s[38:39], v[232:233]
	v_mul_f64_e32 v[94:95], s[18:19], v[228:229]
	v_add_f64_e32 v[12:13], v[230:231], v[12:13]
	v_add_f64_e32 v[16:17], v[222:223], v[16:17]
	v_fma_f64 v[6:7], v[214:215], s[48:49], v[4:5]
	v_add_f64_e64 v[10:11], v[10:11], -v[186:187]
	v_add_f64_e64 v[14:15], v[14:15], -v[226:227]
	;; [unrolled: 1-line block ×4, first 2 shown]
	v_fma_f64 v[28:29], v[130:131], s[10:11], v[26:27]
	v_fma_f64 v[26:27], v[130:131], s[10:11], -v[26:27]
	v_add_f64_e64 v[30:31], v[30:31], -v[136:137]
	v_add_f64_e32 v[8:9], v[188:189], v[8:9]
	v_add_f64_e32 v[20:21], v[252:253], v[20:21]
	;; [unrolled: 1-line block ×3, first 2 shown]
	v_fma_f64 v[4:5], v[214:215], s[36:37], v[4:5]
	v_add_f64_e32 v[84:85], v[2:3], v[12:13]
	v_add_f64_e32 v[12:13], v[2:3], v[16:17]
	v_mul_f64_e32 v[16:17], s[22:23], v[216:217]
	v_add_f64_e32 v[6:7], v[2:3], v[6:7]
	v_add_f64_e32 v[82:83], v[0:1], v[10:11]
	;; [unrolled: 1-line block ×8, first 2 shown]
	v_mul_f64_e32 v[18:19], s[12:13], v[142:143]
	v_add_f64_e32 v[80:81], v[2:3], v[8:9]
	v_add_f64_e32 v[8:9], v[2:3], v[20:21]
	v_add_f64_e32 v[20:21], v[2:3], v[24:25]
	v_add_f64_e32 v[4:5], v[2:3], v[4:5]
	v_fma_f64 v[24:25], v[238:239], s[42:43], v[18:19]
	v_fma_f64 v[18:19], v[238:239], s[26:27], v[18:19]
	s_wait_loadcnt 0x0
	v_add_f64_e32 v[34:35], v[0:1], v[34:35]
	v_fma_f64 v[0:1], v[236:237], s[34:35], v[16:17]
	v_fma_f64 v[16:17], v[236:237], s[40:41], v[16:17]
	s_delay_alu instid0(VALU_DEP_2) | instskip(SKIP_1) | instid1(VALU_DEP_3)
	v_add_f64_e32 v[0:1], v[0:1], v[6:7]
	v_mul_f64_e32 v[6:7], s[40:41], v[234:235]
	v_add_f64_e32 v[4:5], v[16:17], v[4:5]
	s_delay_alu instid0(VALU_DEP_3) | instskip(NEXT) | instid1(VALU_DEP_3)
	v_add_f64_e32 v[0:1], v[24:25], v[0:1]
	v_fma_f64 v[2:3], v[128:129], s[22:23], v[6:7]
	v_mul_f64_e32 v[24:25], s[26:27], v[74:75]
	v_fma_f64 v[6:7], v[128:129], s[22:23], -v[6:7]
	v_add_f64_e32 v[4:5], v[18:19], v[4:5]
	v_fma_f64 v[18:19], v[224:225], s[18:19], -v[92:93]
	v_add_f64_e32 v[2:3], v[2:3], v[28:29]
	v_fma_f64 v[28:29], v[134:135], s[12:13], v[24:25]
	v_add_f64_e32 v[6:7], v[6:7], v[26:27]
	v_fma_f64 v[16:17], v[134:135], s[12:13], -v[24:25]
	v_mul_f64_e32 v[24:25], s[10:11], v[142:143]
	v_mul_f64_e32 v[26:27], s[10:11], v[134:135]
	v_add_f64_e32 v[2:3], v[28:29], v[2:3]
	v_mul_f64_e32 v[28:29], s[20:21], v[146:147]
	v_add_f64_e32 v[6:7], v[16:17], v[6:7]
	v_add_f64_e32 v[24:25], v[38:39], v[24:25]
	v_add_f64_e64 v[26:27], v[26:27], -v[148:149]
	v_mul_f64_e32 v[38:39], s[18:19], v[220:221]
	v_fma_f64 v[30:31], v[240:241], s[30:31], v[28:29]
	v_fma_f64 v[28:29], v[240:241], s[46:47], v[28:29]
	s_delay_alu instid0(VALU_DEP_3)
	v_add_f64_e32 v[38:39], v[56:57], v[38:39]
	scratch_load_b64 v[56:57], off, off offset:1128 th:TH_LOAD_LU ; 8-byte Folded Reload
	v_add_f64_e32 v[0:1], v[30:31], v[0:1]
	v_mul_f64_e32 v[30:31], s[46:47], v[244:245]
	v_add_f64_e32 v[4:5], v[28:29], v[4:5]
	v_mul_f64_e32 v[28:29], s[12:13], v[146:147]
	s_delay_alu instid0(VALU_DEP_3) | instskip(SKIP_2) | instid1(VALU_DEP_4)
	v_fma_f64 v[74:75], v[138:139], s[20:21], v[30:31]
	v_fma_f64 v[16:17], v[138:139], s[20:21], -v[30:31]
	v_mul_f64_e32 v[30:31], s[12:13], v[138:139]
	v_add_f64_e32 v[28:29], v[50:51], v[28:29]
	scratch_load_b64 v[50:51], off, off offset:1168 th:TH_LOAD_LU ; 8-byte Folded Reload
	v_add_f64_e32 v[2:3], v[74:75], v[2:3]
	v_mul_f64_e32 v[74:75], s[14:15], v[220:221]
	v_add_f64_e32 v[6:7], v[16:17], v[6:7]
	v_add_f64_e64 v[30:31], v[30:31], -v[152:153]
	s_delay_alu instid0(VALU_DEP_3) | instskip(SKIP_1) | instid1(VALU_DEP_2)
	v_fma_f64 v[88:89], v[242:243], s[44:45], v[74:75]
	v_fma_f64 v[74:75], v[242:243], s[24:25], v[74:75]
	v_add_f64_e32 v[0:1], v[88:89], v[0:1]
	v_mul_f64_e32 v[88:89], s[24:25], v[246:247]
	s_delay_alu instid0(VALU_DEP_3) | instskip(NEXT) | instid1(VALU_DEP_2)
	v_add_f64_e32 v[4:5], v[74:75], v[4:5]
	v_fma_f64 v[90:91], v[212:213], s[14:15], v[88:89]
	v_fma_f64 v[16:17], v[212:213], s[14:15], -v[88:89]
	s_delay_alu instid0(VALU_DEP_2) | instskip(SKIP_2) | instid1(VALU_DEP_4)
	v_add_f64_e32 v[90:91], v[90:91], v[2:3]
	v_fma_f64 v[2:3], v[46:47], s[28:29], v[94:95]
	v_fma_f64 v[46:47], v[46:47], s[38:39], v[94:95]
	v_add_f64_e32 v[16:17], v[16:17], v[6:7]
	s_delay_alu instid0(VALU_DEP_3) | instskip(NEXT) | instid1(VALU_DEP_3)
	v_add_f64_e32 v[2:3], v[2:3], v[0:1]
	v_add_f64_e32 v[6:7], v[46:47], v[4:5]
	s_delay_alu instid0(VALU_DEP_3) | instskip(SKIP_4) | instid1(VALU_DEP_4)
	v_add_f64_e32 v[4:5], v[18:19], v[16:17]
	v_mul_f64_e32 v[16:17], s[14:15], v[216:217]
	v_mul_f64_e32 v[18:19], s[14:15], v[128:129]
	;; [unrolled: 1-line block ×3, first 2 shown]
	v_fma_f64 v[0:1], v[224:225], s[18:19], v[92:93]
	v_add_f64_e32 v[16:17], v[156:157], v[16:17]
	s_delay_alu instid0(VALU_DEP_4) | instskip(NEXT) | instid1(VALU_DEP_4)
	v_add_f64_e64 v[18:19], v[18:19], -v[248:249]
	v_add_f64_e64 v[46:47], v[46:47], -v[166:167]
	s_delay_alu instid0(VALU_DEP_4) | instskip(NEXT) | instid1(VALU_DEP_4)
	v_add_f64_e32 v[0:1], v[0:1], v[90:91]
	v_add_f64_e32 v[8:9], v[16:17], v[8:9]
	s_delay_alu instid0(VALU_DEP_4) | instskip(SKIP_2) | instid1(VALU_DEP_4)
	v_add_f64_e32 v[10:11], v[18:19], v[10:11]
	v_mul_f64_e32 v[16:17], s[18:19], v[212:213]
	v_mul_f64_e32 v[18:19], s[22:23], v[228:229]
	v_add_f64_e32 v[8:9], v[24:25], v[8:9]
	s_delay_alu instid0(VALU_DEP_4) | instskip(NEXT) | instid1(VALU_DEP_4)
	v_add_f64_e32 v[10:11], v[26:27], v[10:11]
	v_add_f64_e64 v[16:17], v[16:17], -v[154:155]
	v_mul_f64_e32 v[24:25], s[22:23], v[224:225]
	v_add_f64_e32 v[18:19], v[52:53], v[18:19]
	v_mul_f64_e32 v[26:27], s[14:15], v[134:135]
	scratch_load_b64 v[52:53], off, off offset:1120 th:TH_LOAD_LU ; 8-byte Folded Reload
	v_add_f64_e32 v[8:9], v[28:29], v[8:9]
	v_add_f64_e32 v[10:11], v[30:31], v[10:11]
	v_mul_f64_e32 v[28:29], s[22:23], v[146:147]
	v_add_f64_e64 v[24:25], v[24:25], -v[150:151]
	v_mul_f64_e32 v[30:31], s[22:23], v[138:139]
	v_add_f64_e64 v[26:27], v[26:27], -v[158:159]
	v_add_f64_e32 v[8:9], v[38:39], v[8:9]
	v_add_f64_e32 v[16:17], v[16:17], v[10:11]
	;; [unrolled: 1-line block ×3, first 2 shown]
	v_mul_f64_e32 v[38:39], s[20:21], v[220:221]
	v_add_f64_e64 v[30:31], v[30:31], -v[42:43]
	v_mul_f64_e32 v[42:43], s[22:23], v[212:213]
	scratch_load_b64 v[60:61], off, off offset:1136 th:TH_LOAD_LU ; 8-byte Folded Reload
	v_add_f64_e32 v[10:11], v[18:19], v[8:9]
	v_add_f64_e32 v[8:9], v[24:25], v[16:17]
	v_mul_f64_e32 v[16:17], s[10:11], v[216:217]
	v_mul_f64_e32 v[18:19], s[10:11], v[128:129]
	;; [unrolled: 1-line block ×3, first 2 shown]
	v_add_f64_e32 v[38:39], v[68:69], v[38:39]
	v_add_f64_e64 v[42:43], v[42:43], -v[170:171]
	v_add_f64_e32 v[16:17], v[48:49], v[16:17]
	v_add_f64_e64 v[18:19], v[18:19], -v[250:251]
	v_add_f64_e32 v[24:25], v[54:55], v[24:25]
	v_mul_f64_e32 v[48:49], s[20:21], v[216:217]
	scratch_load_b64 v[54:55], off, off offset:1144 th:TH_LOAD_LU ; 8-byte Folded Reload
	v_add_f64_e32 v[12:13], v[16:17], v[12:13]
	v_add_f64_e32 v[14:15], v[18:19], v[14:15]
	v_mul_f64_e32 v[16:17], s[20:21], v[212:213]
	v_mul_f64_e32 v[18:19], s[12:13], v[228:229]
	s_wait_loadcnt 0x3
	v_add_f64_e32 v[48:49], v[50:51], v[48:49]
	scratch_load_b64 v[50:51], off, off offset:576 th:TH_LOAD_LU ; 8-byte Folded Reload
	v_add_f64_e32 v[12:13], v[24:25], v[12:13]
	v_add_f64_e32 v[14:15], v[26:27], v[14:15]
	v_add_f64_e64 v[16:17], v[16:17], -v[44:45]
	v_mul_f64_e32 v[24:25], s[12:13], v[224:225]
	v_add_f64_e32 v[18:19], v[64:65], v[18:19]
	v_mul_f64_e32 v[26:27], s[22:23], v[134:135]
	v_add_f64_e32 v[20:21], v[48:49], v[20:21]
	scratch_load_b64 v[48:49], off, off offset:1000 th:TH_LOAD_LU ; 8-byte Folded Reload
	v_mul_f64_e32 v[44:45], s[14:15], v[228:229]
	v_add_f64_e32 v[12:13], v[28:29], v[12:13]
	v_add_f64_e32 v[14:15], v[30:31], v[14:15]
	v_mul_f64_e32 v[28:29], s[18:19], v[146:147]
	v_add_f64_e64 v[24:25], v[24:25], -v[36:37]
	v_mul_f64_e32 v[30:31], s[18:19], v[138:139]
	v_add_f64_e64 v[26:27], v[26:27], -v[58:59]
	v_mul_f64_e32 v[36:37], s[10:11], v[220:221]
	scratch_load_b64 v[58:59], off, off offset:1152 th:TH_LOAD_LU ; 8-byte Folded Reload
	v_add_f64_e32 v[44:45], v[178:179], v[44:45]
	v_add_f64_e32 v[12:13], v[38:39], v[12:13]
	;; [unrolled: 1-line block ×4, first 2 shown]
	v_mul_f64_e32 v[38:39], s[10:11], v[212:213]
	v_add_f64_e64 v[30:31], v[30:31], -v[66:67]
	v_add_f64_e32 v[36:37], v[132:133], v[36:37]
	v_add_f64_e32 v[14:15], v[18:19], v[12:13]
	;; [unrolled: 1-line block ×3, first 2 shown]
	v_mul_f64_e32 v[16:17], s[12:13], v[216:217]
	v_mul_f64_e32 v[18:19], s[12:13], v[128:129]
	;; [unrolled: 1-line block ×3, first 2 shown]
	v_add_f64_e64 v[38:39], v[38:39], -v[70:71]
	s_delay_alu instid0(VALU_DEP_4) | instskip(NEXT) | instid1(VALU_DEP_4)
	v_add_f64_e32 v[16:17], v[72:73], v[16:17]
	v_add_f64_e64 v[18:19], v[18:19], -v[40:41]
	s_delay_alu instid0(VALU_DEP_4) | instskip(SKIP_1) | instid1(VALU_DEP_4)
	v_add_f64_e32 v[24:25], v[76:77], v[24:25]
	v_mul_f64_e32 v[40:41], s[22:23], v[220:221]
	v_add_f64_e32 v[16:17], v[16:17], v[84:85]
	s_delay_alu instid0(VALU_DEP_4) | instskip(NEXT) | instid1(VALU_DEP_3)
	v_add_f64_e32 v[18:19], v[18:19], v[86:87]
	v_add_f64_e32 v[40:41], v[180:181], v[40:41]
	s_delay_alu instid0(VALU_DEP_3) | instskip(NEXT) | instid1(VALU_DEP_3)
	v_add_f64_e32 v[16:17], v[24:25], v[16:17]
	v_add_f64_e32 v[18:19], v[26:27], v[18:19]
	v_mul_f64_e32 v[24:25], s[20:21], v[228:229]
	v_mul_f64_e32 v[26:27], s[20:21], v[224:225]
	s_delay_alu instid0(VALU_DEP_4) | instskip(NEXT) | instid1(VALU_DEP_4)
	v_add_f64_e32 v[16:17], v[28:29], v[16:17]
	v_add_f64_e32 v[18:19], v[30:31], v[18:19]
	s_delay_alu instid0(VALU_DEP_4) | instskip(NEXT) | instid1(VALU_DEP_4)
	v_add_f64_e32 v[24:25], v[160:161], v[24:25]
	v_add_f64_e64 v[26:27], v[26:27], -v[62:63]
	v_mul_f64_e32 v[30:31], s[20:21], v[134:135]
	scratch_load_b64 v[62:63], off, off offset:1176 th:TH_LOAD_LU ; 8-byte Folded Reload
	v_add_f64_e32 v[16:17], v[36:37], v[16:17]
	v_add_f64_e32 v[28:29], v[38:39], v[18:19]
	v_mul_f64_e32 v[36:37], s[10:11], v[146:147]
	v_mul_f64_e32 v[38:39], s[10:11], v[138:139]
	v_add_f64_e64 v[30:31], v[30:31], -v[164:165]
	v_add_f64_e32 v[18:19], v[24:25], v[16:17]
	v_add_f64_e32 v[16:17], v[26:27], v[28:29]
	v_mul_f64_e32 v[26:27], s[18:19], v[128:129]
	v_mul_f64_e32 v[24:25], s[18:19], v[216:217]
	;; [unrolled: 1-line block ×3, first 2 shown]
	v_add_f64_e32 v[36:37], v[176:177], v[36:37]
	v_add_f64_e64 v[38:39], v[38:39], -v[168:169]
	v_add_f64_e64 v[26:27], v[26:27], -v[162:163]
	v_add_f64_e32 v[24:25], v[172:173], v[24:25]
	v_add_f64_e32 v[28:29], v[174:175], v[28:29]
	s_delay_alu instid0(VALU_DEP_3) | instskip(NEXT) | instid1(VALU_DEP_3)
	v_add_f64_e32 v[26:27], v[26:27], v[82:83]
	v_add_f64_e32 v[24:25], v[24:25], v[80:81]
	s_delay_alu instid0(VALU_DEP_2)
	v_add_f64_e32 v[26:27], v[30:31], v[26:27]
	scratch_load_b64 v[30:31], off, off offset:624 th:TH_LOAD_LU ; 8-byte Folded Reload
	s_wait_loadcnt 0x4
	v_add_f64_e32 v[32:33], v[32:33], v[50:51]
	scratch_load_b64 v[50:51], off, off offset:1104 th:TH_LOAD_LU ; 8-byte Folded Reload
	v_add_f64_e32 v[24:25], v[28:29], v[24:25]
	scratch_load_b64 v[28:29], off, off offset:712 th:TH_LOAD_LU ; 8-byte Folded Reload
	v_add_f64_e32 v[26:27], v[38:39], v[26:27]
	v_add_f64_e32 v[24:25], v[36:37], v[24:25]
	scratch_load_b64 v[36:37], off, off offset:1184 th:TH_LOAD_LU ; 8-byte Folded Reload
	v_add_f64_e32 v[26:27], v[42:43], v[26:27]
	v_add_f64_e32 v[24:25], v[40:41], v[24:25]
	s_wait_loadcnt 0x2
	v_add_f64_e32 v[34:35], v[34:35], v[50:51]
	v_mul_f64_e32 v[50:51], s[20:21], v[128:129]
	s_delay_alu instid0(VALU_DEP_1)
	v_add_f64_e64 v[50:51], v[50:51], -v[52:53]
	scratch_load_b64 v[52:53], off, off offset:936 th:TH_LOAD_LU ; 8-byte Folded Reload
	v_add_f64_e32 v[22:23], v[50:51], v[22:23]
	scratch_load_b64 v[50:51], off, off offset:1160 th:TH_LOAD_LU ; 8-byte Folded Reload
	s_wait_loadcnt 0x1
	v_add_f64_e32 v[32:33], v[32:33], v[52:53]
	scratch_load_b64 v[52:53], off, off offset:608 th:TH_LOAD_LU ; 8-byte Folded Reload
	s_wait_loadcnt 0x0
	v_add_f64_e32 v[34:35], v[34:35], v[52:53]
	v_mul_f64_e32 v[52:53], s[18:19], v[142:143]
	s_delay_alu instid0(VALU_DEP_1)
	v_add_f64_e32 v[52:53], v[54:55], v[52:53]
	scratch_load_b64 v[54:55], off, off offset:952 th:TH_LOAD_LU ; 8-byte Folded Reload
	v_add_f64_e32 v[20:21], v[52:53], v[20:21]
	s_wait_loadcnt 0x0
	v_add_f64_e32 v[32:33], v[32:33], v[54:55]
	scratch_load_b64 v[54:55], off, off offset:656 th:TH_LOAD_LU ; 8-byte Folded Reload
	s_wait_loadcnt 0x0
	v_add_f64_e32 v[34:35], v[34:35], v[54:55]
	v_mul_f64_e32 v[54:55], s[18:19], v[134:135]
	s_delay_alu instid0(VALU_DEP_1)
	v_add_f64_e64 v[54:55], v[54:55], -v[56:57]
	scratch_load_b64 v[56:57], off, off offset:968 th:TH_LOAD_LU ; 8-byte Folded Reload
	v_add_f64_e32 v[22:23], v[54:55], v[22:23]
	s_wait_loadcnt 0x0
	v_add_f64_e32 v[32:33], v[32:33], v[56:57]
	scratch_load_b64 v[56:57], off, off offset:664 th:TH_LOAD_LU ; 8-byte Folded Reload
	s_wait_loadcnt 0x0
	v_add_f64_e32 v[34:35], v[34:35], v[56:57]
	v_mul_f64_e32 v[56:57], s[14:15], v[146:147]
	s_delay_alu instid0(VALU_DEP_1)
	v_add_f64_e32 v[56:57], v[58:59], v[56:57]
	scratch_load_b64 v[58:59], off, off offset:984 th:TH_LOAD_LU ; 8-byte Folded Reload
	v_add_f64_e32 v[20:21], v[56:57], v[20:21]
	s_wait_loadcnt 0x0
	v_add_f64_e32 v[32:33], v[32:33], v[58:59]
	scratch_load_b64 v[58:59], off, off offset:680 th:TH_LOAD_LU ; 8-byte Folded Reload
	s_wait_loadcnt 0x0
	v_add_f64_e32 v[34:35], v[34:35], v[58:59]
	v_mul_f64_e32 v[58:59], s[14:15], v[138:139]
	s_delay_alu instid0(VALU_DEP_1)
	v_add_f64_e64 v[58:59], v[58:59], -v[60:61]
	scratch_load_b64 v[60:61], off, off offset:1016 th:TH_LOAD_LU ; 8-byte Folded Reload
	v_add_f64_e32 v[22:23], v[58:59], v[22:23]
	s_wait_loadcnt 0x0
	v_add_f64_e32 v[32:33], v[32:33], v[60:61]
	scratch_load_b64 v[60:61], off, off offset:904 th:TH_LOAD_LU ; 8-byte Folded Reload
	v_add_f64_e32 v[32:33], v[32:33], v[48:49]
	scratch_load_b64 v[48:49], off, off offset:696 th:TH_LOAD_LU ; 8-byte Folded Reload
	v_add_f64_e32 v[28:29], v[32:33], v[28:29]
	v_mul_f64_e32 v[32:33], s[10:11], v[228:229]
	s_wait_loadcnt 0x1
	v_add_f64_e32 v[34:35], v[34:35], v[60:61]
	v_mul_f64_e32 v[60:61], s[12:13], v[220:221]
	s_wait_loadcnt 0x0
	s_delay_alu instid0(VALU_DEP_2) | instskip(SKIP_1) | instid1(VALU_DEP_2)
	v_add_f64_e32 v[34:35], v[34:35], v[48:49]
	v_mul_f64_e32 v[48:49], s[12:13], v[212:213]
	v_add_f64_e32 v[30:31], v[34:35], v[30:31]
	scratch_load_b64 v[34:35], off, off offset:1192 th:TH_LOAD_LU ; 8-byte Folded Reload
	s_wait_loadcnt 0x0
	v_add_f64_e32 v[32:33], v[34:35], v[32:33]
	scratch_load_b64 v[34:35], off, off offset:1096 th:TH_LOAD_LU ; 8-byte Folded Reload
	s_wait_loadcnt 0x0
	v_add_f64_e32 v[28:29], v[28:29], v[34:35]
	scratch_load_b64 v[34:35], off, off offset:592 th:TH_LOAD_LU ; 8-byte Folded Reload
	v_add_f64_e32 v[60:61], v[62:63], v[60:61]
	s_wait_loadcnt 0x0
	v_add_f64_e32 v[30:31], v[30:31], v[34:35]
	v_mul_f64_e32 v[34:35], s[10:11], v[224:225]
	s_delay_alu instid0(VALU_DEP_1) | instskip(NEXT) | instid1(VALU_DEP_4)
	v_add_f64_e64 v[34:35], v[34:35], -v[36:37]
	v_add_f64_e32 v[36:37], v[60:61], v[20:21]
	scratch_load_b64 v[20:21], off, off offset:1088 th:TH_LOAD_LU ; 8-byte Folded Reload
	s_wait_loadcnt 0x0
	v_add_f64_e32 v[28:29], v[28:29], v[20:21]
	scratch_load_b64 v[20:21], off, off offset:1048 th:TH_LOAD_LU ; 8-byte Folded Reload
	s_wait_loadcnt 0x0
	v_add_f64_e32 v[40:41], v[30:31], v[20:21]
	v_add_f64_e32 v[20:21], v[46:47], v[26:27]
	;; [unrolled: 1-line block ×3, first 2 shown]
	s_clause 0x1
	scratch_load_b32 v32, off, off offset:540
	scratch_load_b32 v33, off, off offset:500
	v_add_f64_e64 v[48:49], v[48:49], -v[50:51]
	scratch_load_b64 v[30:31], off, off offset:1064 th:TH_LOAD_LU ; 8-byte Folded Reload
	v_add_f64_e32 v[38:39], v[48:49], v[22:23]
	v_add_f64_e32 v[22:23], v[44:45], v[24:25]
	s_delay_alu instid0(VALU_DEP_2) | instskip(SKIP_3) | instid1(VALU_DEP_1)
	v_add_f64_e32 v[24:25], v[34:35], v[38:39]
	s_wait_loadcnt 0x2
	v_mul_u32_u24_e32 v32, 52, v32
	s_wait_loadcnt 0x1
	v_or_b32_e32 v32, v32, v33
	scratch_load_b128 v[33:36], off, off offset:140 ; 16-byte Folded Reload
	v_lshlrev_b32_e32 v32, 4, v32
	ds_store_b128 v32, v[196:199] offset:512
	s_wait_loadcnt 0x0
	ds_store_b128 v32, v[33:36] offset:576
	scratch_load_b128 v[33:36], off, off offset:124 ; 16-byte Folded Reload
	v_add_f64_e32 v[30:31], v[28:29], v[30:31]
	scratch_load_b64 v[28:29], off, off offset:1032 th:TH_LOAD_LU ; 8-byte Folded Reload
	s_wait_loadcnt 0x1
	ds_store_b128 v32, v[33:36] offset:640
	scratch_load_b128 v[33:36], off, off offset:92 ; 16-byte Folded Reload
	s_wait_loadcnt 0x1
	v_add_f64_e32 v[28:29], v[40:41], v[28:29]
	s_wait_loadcnt 0x0
	ds_store_b128 v32, v[33:36] offset:704
	ds_store_b128 v32, v[8:11] offset:128
	ds_store_b128 v32, v[12:15] offset:192
	ds_store_b128 v32, v[16:19] offset:256
	ds_store_b128 v32, v[20:23] offset:320
	ds_store_b128 v32, v[4:7] offset:384
	ds_store_b128 v32, v[0:3] offset:448
	ds_store_b128 v32, v[24:27] offset:64
	ds_store_b128 v32, v[28:31]
	scratch_load_b128 v[0:3], off, off offset:108 ; 16-byte Folded Reload
	s_wait_loadcnt 0x0
	ds_store_b128 v32, v[0:3] offset:768
.LBB0_15:
	s_wait_alu 0xfffe
	s_or_b32 exec_lo, exec_lo, s1
	v_mad_co_u64_u32 v[4:5], null, 0x60, v100, s[2:3]
	global_wb scope:SCOPE_SE
	s_wait_storecnt_dscnt 0x0
	s_barrier_signal -1
	s_barrier_wait -1
	global_inv scope:SCOPE_SE
	s_mov_b32 s22, 0xe976ee23
	s_mov_b32 s12, 0x429ad128
	s_clause 0x3
	global_load_b128 v[52:55], v[4:5], off offset:800
	global_load_b128 v[56:59], v[4:5], off offset:816
	;; [unrolled: 1-line block ×4, first 2 shown]
	ds_load_b128 v[0:3], v182 offset:2496
	ds_load_b128 v[6:9], v182 offset:1664
	;; [unrolled: 1-line block ×6, first 2 shown]
	s_mov_b32 s26, 0x37e14327
	s_mov_b32 s23, 0xbfe11646
	;; [unrolled: 1-line block ×12, first 2 shown]
	s_wait_alu 0xfffe
	s_mov_b32 s30, s24
	s_mov_b32 s28, s20
	s_mov_b32 s10, 0x36b3c0b5
	s_mov_b32 s14, 0x37c3f68c
	s_mov_b32 s11, 0x3fac98ee
	s_mov_b32 s15, 0x3fdc38aa
	s_wait_loadcnt_dscnt 0x305
	v_mul_f64_e32 v[26:27], v[2:3], v[54:55]
	v_mul_f64_e32 v[28:29], v[0:1], v[54:55]
	s_wait_loadcnt_dscnt 0x203
	v_mul_f64_e32 v[30:31], v[12:13], v[58:59]
	v_mul_f64_e32 v[32:33], v[10:11], v[58:59]
	;; [unrolled: 3-line block ×3, first 2 shown]
	v_fma_f64 v[38:39], v[0:1], v[52:53], -v[26:27]
	v_fma_f64 v[40:41], v[2:3], v[52:53], v[28:29]
	ds_load_b128 v[0:3], v182 offset:12480
	v_fma_f64 v[42:43], v[10:11], v[56:57], -v[30:31]
	v_fma_f64 v[44:45], v[12:13], v[56:57], v[32:33]
	ds_load_b128 v[10:13], v182 offset:11648
	v_fma_f64 v[34:35], v[14:15], v[60:61], -v[34:35]
	v_fma_f64 v[36:37], v[16:17], v[60:61], v[36:37]
	s_wait_loadcnt_dscnt 0x1
	v_mul_f64_e32 v[26:27], v[2:3], v[66:67]
	v_mul_f64_e32 v[14:15], v[0:1], v[66:67]
	s_delay_alu instid0(VALU_DEP_2) | instskip(NEXT) | instid1(VALU_DEP_2)
	v_fma_f64 v[46:47], v[0:1], v[64:65], -v[26:27]
	v_fma_f64 v[48:49], v[2:3], v[64:65], v[14:15]
	ds_load_b128 v[0:3], v182 offset:3328
	ds_load_b128 v[14:17], v182 offset:4160
	s_clause 0x2
	scratch_store_b128 off, v[52:55], off offset:592
	scratch_store_b128 off, v[56:59], off offset:576
	;; [unrolled: 1-line block ×3, first 2 shown]
	s_wait_dscnt 0x1
	v_mul_f64_e32 v[26:27], v[2:3], v[54:55]
	s_delay_alu instid0(VALU_DEP_1) | instskip(SKIP_1) | instid1(VALU_DEP_1)
	v_fma_f64 v[50:51], v[0:1], v[52:53], -v[26:27]
	v_mul_f64_e32 v[0:1], v[0:1], v[54:55]
	v_fma_f64 v[52:53], v[2:3], v[52:53], v[0:1]
	v_mul_f64_e32 v[0:1], v[20:21], v[58:59]
	s_delay_alu instid0(VALU_DEP_1) | instskip(SKIP_1) | instid1(VALU_DEP_1)
	v_fma_f64 v[54:55], v[18:19], v[56:57], -v[0:1]
	v_mul_f64_e32 v[0:1], v[18:19], v[58:59]
	v_fma_f64 v[56:57], v[20:21], v[56:57], v[0:1]
	v_mul_f64_e32 v[0:1], v[24:25], v[62:63]
	s_delay_alu instid0(VALU_DEP_1) | instskip(SKIP_1) | instid1(VALU_DEP_2)
	v_fma_f64 v[58:59], v[22:23], v[60:61], -v[0:1]
	v_mul_f64_e32 v[0:1], v[22:23], v[62:63]
	v_add_f64_e32 v[150:151], v[50:51], v[58:59]
	s_delay_alu instid0(VALU_DEP_2)
	v_fma_f64 v[60:61], v[24:25], v[60:61], v[0:1]
	ds_load_b128 v[0:3], v182 offset:13312
	ds_load_b128 v[18:21], v182 offset:14144
	scratch_store_b128 off, v[64:67], off offset:560 ; 16-byte Folded Spill
	s_clause 0x1
	global_load_b128 v[192:195], v[4:5], off offset:832
	global_load_b128 v[188:191], v[4:5], off offset:848
	s_wait_dscnt 0x1
	v_mul_f64_e32 v[22:23], v[2:3], v[66:67]
	v_add_f64_e32 v[158:159], v[52:53], v[60:61]
	v_add_f64_e64 v[52:53], v[52:53], -v[60:61]
	s_delay_alu instid0(VALU_DEP_3) | instskip(SKIP_1) | instid1(VALU_DEP_2)
	v_fma_f64 v[62:63], v[0:1], v[64:65], -v[22:23]
	v_mul_f64_e32 v[0:1], v[0:1], v[66:67]
	v_add_f64_e32 v[152:153], v[54:55], v[62:63]
	s_delay_alu instid0(VALU_DEP_2)
	v_fma_f64 v[64:65], v[2:3], v[64:65], v[0:1]
	ds_load_b128 v[0:3], v182 offset:7488
	ds_load_b128 v[22:25], v182 offset:6656
	v_add_f64_e32 v[160:161], v[56:57], v[64:65]
	s_wait_loadcnt_dscnt 0x101
	v_mul_f64_e32 v[4:5], v[2:3], v[194:195]
	s_delay_alu instid0(VALU_DEP_1) | instskip(SKIP_1) | instid1(VALU_DEP_1)
	v_fma_f64 v[66:67], v[0:1], v[192:193], -v[4:5]
	v_mul_f64_e32 v[0:1], v[0:1], v[194:195]
	v_fma_f64 v[68:69], v[2:3], v[192:193], v[0:1]
	ds_load_b128 v[0:3], v182 offset:9984
	ds_load_b128 v[26:29], v182 offset:10816
	s_wait_loadcnt_dscnt 0x1
	v_mul_f64_e32 v[4:5], v[2:3], v[190:191]
	s_delay_alu instid0(VALU_DEP_1) | instskip(SKIP_1) | instid1(VALU_DEP_1)
	v_fma_f64 v[70:71], v[0:1], v[188:189], -v[4:5]
	v_mul_f64_e32 v[0:1], v[0:1], v[190:191]
	v_fma_f64 v[72:73], v[2:3], v[188:189], v[0:1]
	ds_load_b128 v[0:3], v182 offset:8320
	ds_load_b128 v[30:33], v182 offset:9152
	s_wait_dscnt 0x1
	v_mul_f64_e32 v[4:5], v[2:3], v[194:195]
	s_delay_alu instid0(VALU_DEP_1) | instskip(SKIP_1) | instid1(VALU_DEP_1)
	v_fma_f64 v[74:75], v[0:1], v[192:193], -v[4:5]
	v_mul_f64_e32 v[0:1], v[0:1], v[194:195]
	v_fma_f64 v[76:77], v[2:3], v[192:193], v[0:1]
	v_mul_f64_e32 v[0:1], v[28:29], v[190:191]
	s_delay_alu instid0(VALU_DEP_1) | instskip(SKIP_1) | instid1(VALU_DEP_2)
	v_fma_f64 v[78:79], v[26:27], v[188:189], -v[0:1]
	v_mul_f64_e32 v[0:1], v[26:27], v[190:191]
	v_add_f64_e32 v[154:155], v[74:75], v[78:79]
	s_delay_alu instid0(VALU_DEP_2) | instskip(SKIP_3) | instid1(VALU_DEP_1)
	v_fma_f64 v[80:81], v[28:29], v[188:189], v[0:1]
	scratch_load_b32 v1, off, off offset:12 th:TH_LOAD_LU ; 4-byte Folded Reload
	v_add_f64_e32 v[28:29], v[68:69], v[72:73]
	v_add_f64_e32 v[162:163], v[76:77], v[80:81]
	v_add_f64_e64 v[60:61], v[162:163], -v[160:161]
	s_wait_loadcnt 0x0
	v_and_b32_e32 v0, 0xff, v1
	s_delay_alu instid0(VALU_DEP_1) | instskip(NEXT) | instid1(VALU_DEP_1)
	v_mul_lo_u16 v0, 0x4f, v0
	v_lshrrev_b16 v0, 12, v0
	s_delay_alu instid0(VALU_DEP_1) | instskip(NEXT) | instid1(VALU_DEP_1)
	v_mul_lo_u16 v0, v0, 52
	v_sub_nc_u16 v0, v1, v0
	s_delay_alu instid0(VALU_DEP_1) | instskip(NEXT) | instid1(VALU_DEP_1)
	v_and_b32_e32 v0, 0xff, v0
	v_mad_co_u64_u32 v[26:27], null, 0x60, v0, s[2:3]
	s_clause 0x1
	global_load_b128 v[84:87], v[26:27], off offset:800
	global_load_b128 v[88:91], v[26:27], off offset:816
	v_lshlrev_b32_e32 v0, 4, v0
	s_wait_loadcnt 0x1
	v_mul_f64_e32 v[1:2], v[16:17], v[86:87]
	scratch_store_b128 off, v[84:87], off offset:696 ; 16-byte Folded Spill
	s_wait_loadcnt 0x0
	scratch_store_b128 off, v[88:91], off offset:664 ; 16-byte Folded Spill
	v_fma_f64 v[82:83], v[14:15], v[84:85], -v[1:2]
	v_mul_f64_e32 v[1:2], v[14:15], v[86:87]
	s_delay_alu instid0(VALU_DEP_1) | instskip(SKIP_1) | instid1(VALU_DEP_1)
	v_fma_f64 v[84:85], v[16:17], v[84:85], v[1:2]
	v_mul_f64_e32 v[1:2], v[24:25], v[90:91]
	v_fma_f64 v[86:87], v[22:23], v[88:89], -v[1:2]
	v_mul_f64_e32 v[1:2], v[22:23], v[90:91]
	s_delay_alu instid0(VALU_DEP_1)
	v_fma_f64 v[88:89], v[24:25], v[88:89], v[1:2]
	s_clause 0x1
	global_load_b128 v[22:25], v[26:27], off offset:880
	global_load_b128 v[96:99], v[26:27], off offset:864
	ds_load_b128 v[1:4], v182 offset:16640
	s_wait_loadcnt_dscnt 0x100
	v_mul_f64_e32 v[14:15], v[3:4], v[24:25]
	scratch_store_b128 off, v[22:25], off offset:12 ; 16-byte Folded Spill
	s_wait_loadcnt 0x0
	scratch_store_b128 off, v[96:99], off offset:608 ; 16-byte Folded Spill
	v_fma_f64 v[90:91], v[1:2], v[22:23], -v[14:15]
	v_mul_f64_e32 v[1:2], v[1:2], v[24:25]
	v_add_f64_e32 v[24:25], v[66:67], v[70:71]
	s_delay_alu instid0(VALU_DEP_3) | instskip(NEXT) | instid1(VALU_DEP_3)
	v_add_f64_e32 v[166:167], v[82:83], v[90:91]
	v_fma_f64 v[92:93], v[3:4], v[22:23], v[1:2]
	v_mul_f64_e32 v[1:2], v[20:21], v[98:99]
	v_add_f64_e32 v[22:23], v[38:39], v[34:35]
	v_add_f64_e64 v[34:35], v[38:39], -v[34:35]
	v_add_f64_e64 v[38:39], v[72:73], -v[68:69]
	v_add_f64_e32 v[174:175], v[84:85], v[92:93]
	v_fma_f64 v[94:95], v[18:19], v[96:97], -v[1:2]
	v_mul_f64_e32 v[1:2], v[18:19], v[98:99]
	s_delay_alu instid0(VALU_DEP_2) | instskip(NEXT) | instid1(VALU_DEP_2)
	v_add_f64_e32 v[168:169], v[86:87], v[94:95]
	v_fma_f64 v[96:97], v[20:21], v[96:97], v[1:2]
	s_clause 0x1
	global_load_b128 v[18:21], v[26:27], off offset:832
	global_load_b128 v[14:17], v[26:27], off offset:848
	v_add_f64_e32 v[26:27], v[40:41], v[36:37]
	v_add_f64_e64 v[36:37], v[40:41], -v[36:37]
	v_add_f64_e32 v[180:181], v[88:89], v[96:97]
	s_wait_loadcnt 0x1
	v_mul_f64_e32 v[1:2], v[32:33], v[20:21]
	scratch_store_b128 off, v[18:21], off offset:680 ; 16-byte Folded Spill
	s_wait_loadcnt 0x0
	scratch_store_b128 off, v[14:17], off offset:624 ; 16-byte Folded Spill
	v_fma_f64 v[98:99], v[30:31], v[18:19], -v[1:2]
	v_mul_f64_e32 v[1:2], v[30:31], v[20:21]
	v_add_f64_e32 v[30:31], v[152:153], v[150:151]
	s_delay_alu instid0(VALU_DEP_2) | instskip(SKIP_1) | instid1(VALU_DEP_3)
	v_fma_f64 v[128:129], v[32:33], v[18:19], v[1:2]
	v_mul_f64_e32 v[1:2], v[12:13], v[16:17]
	v_add_f64_e32 v[156:157], v[154:155], v[30:31]
	v_add_f64_e32 v[30:31], v[160:161], v[158:159]
	;; [unrolled: 1-line block ×3, first 2 shown]
	v_add_f64_e64 v[32:33], v[70:71], -v[66:67]
	v_fma_f64 v[130:131], v[10:11], v[14:15], -v[1:2]
	v_mul_f64_e32 v[1:2], v[10:11], v[16:17]
	v_add_f64_e32 v[164:165], v[162:163], v[30:31]
	v_add_f64_e32 v[30:31], v[168:169], v[166:167]
	s_delay_alu instid0(VALU_DEP_4) | instskip(NEXT) | instid1(VALU_DEP_4)
	v_add_f64_e32 v[170:171], v[98:99], v[130:131]
	v_fma_f64 v[148:149], v[12:13], v[14:15], v[1:2]
	v_add_f64_e32 v[14:15], v[42:43], v[46:47]
	s_delay_alu instid0(VALU_DEP_3) | instskip(NEXT) | instid1(VALU_DEP_3)
	v_add_f64_e32 v[172:173], v[170:171], v[30:31]
	v_add_f64_e32 v[184:185], v[128:129], v[148:149]
	s_delay_alu instid0(VALU_DEP_3)
	v_add_f64_e32 v[1:2], v[14:15], v[22:23]
	v_add_f64_e32 v[30:31], v[180:181], v[174:175]
	v_add_f64_e64 v[40:41], v[14:15], -v[22:23]
	v_add_f64_e64 v[22:23], v[22:23], -v[24:25]
	v_add_f64_e32 v[5:6], v[6:7], v[172:173]
	v_add_f64_e32 v[16:17], v[24:25], v[1:2]
	;; [unrolled: 1-line block ×4, first 2 shown]
	v_add_f64_e64 v[30:31], v[42:43], -v[46:47]
	v_add_f64_e64 v[42:43], v[44:45], -v[48:49]
	;; [unrolled: 1-line block ×6, first 2 shown]
	v_add_f64_e32 v[20:21], v[28:29], v[1:2]
	ds_load_b128 v[1:4], v182
	ds_load_b128 v[10:13], v182 offset:832
	v_add_f64_e32 v[14:15], v[32:33], v[30:31]
	v_add_f64_e64 v[18:19], v[32:33], -v[30:31]
	v_add_f64_e64 v[30:31], v[30:31], -v[34:35]
	;; [unrolled: 1-line block ×3, first 2 shown]
	v_add_f64_e32 v[68:69], v[38:39], v[42:43]
	v_add_f64_e64 v[42:43], v[42:43], -v[36:37]
	v_add_f64_e64 v[32:33], v[34:35], -v[32:33]
	v_add_f64_e32 v[7:8], v[8:9], v[186:187]
	global_wb scope:SCOPE_SE
	s_wait_storecnt_dscnt 0x0
	s_barrier_signal -1
	s_barrier_wait -1
	global_inv scope:SCOPE_SE
	v_add_f64_e32 v[1:2], v[1:2], v[16:17]
	v_add_f64_e32 v[12:13], v[12:13], v[164:165]
	;; [unrolled: 1-line block ×5, first 2 shown]
	v_mul_f64_e32 v[70:71], s[22:23], v[18:19]
	v_add_f64_e64 v[34:35], v[36:37], -v[38:39]
	v_mul_f64_e32 v[26:27], s[12:13], v[30:31]
	v_add_f64_e32 v[68:69], v[68:69], v[36:37]
	v_mul_f64_e32 v[28:29], s[12:13], v[42:43]
	v_mul_f64_e32 v[36:37], s[26:27], v[24:25]
	;; [unrolled: 1-line block ×3, first 2 shown]
	s_wait_alu 0xfffe
	v_mul_f64_e32 v[14:15], s[10:11], v[44:45]
	v_mul_f64_e32 v[18:19], s[10:11], v[48:49]
	v_fma_f64 v[204:205], v[16:17], s[18:19], v[1:2]
	v_fma_f64 v[206:207], v[20:21], s[18:19], v[3:4]
	v_fma_f64 v[16:17], v[30:31], s[12:13], -v[70:71]
	v_mul_f64_e32 v[30:31], s[26:27], v[22:23]
	v_fma_f64 v[22:23], v[32:33], s[30:31], -v[26:27]
	v_fma_f64 v[32:33], v[32:33], s[24:25], v[70:71]
	v_fma_f64 v[24:25], v[34:35], s[30:31], -v[28:29]
	v_fma_f64 v[28:29], v[46:47], s[28:29], -v[36:37]
	v_fma_f64 v[36:37], v[48:49], s[10:11], v[36:37]
	v_fma_f64 v[14:15], v[40:41], s[20:21], -v[14:15]
	v_fma_f64 v[34:35], v[34:35], s[24:25], v[66:67]
	v_fma_f64 v[18:19], v[46:47], s[20:21], -v[18:19]
	v_add_f64_e64 v[46:47], v[78:79], -v[74:75]
	v_add_f64_e64 v[48:49], v[50:51], -v[58:59]
	;; [unrolled: 1-line block ×4, first 2 shown]
	v_fma_f64 v[76:77], v[164:165], s[18:19], v[12:13]
	v_fma_f64 v[74:75], v[156:157], s[18:19], v[10:11]
	;; [unrolled: 1-line block ×3, first 2 shown]
	v_fma_f64 v[26:27], v[40:41], s[28:29], -v[30:31]
	v_fma_f64 v[38:39], v[72:73], s[14:15], v[22:23]
	v_fma_f64 v[30:31], v[44:45], s[10:11], v[30:31]
	;; [unrolled: 1-line block ×3, first 2 shown]
	v_add_f64_e32 v[28:29], v[28:29], v[206:207]
	v_add_f64_e32 v[36:37], v[36:37], v[206:207]
	v_fma_f64 v[16:17], v[42:43], s[12:13], -v[66:67]
	v_fma_f64 v[34:35], v[68:69], s[14:15], v[34:35]
	v_add_f64_e32 v[210:211], v[14:15], v[204:205]
	v_add_f64_e32 v[212:213], v[18:19], v[206:207]
	;; [unrolled: 1-line block ×3, first 2 shown]
	v_add_f64_e64 v[24:25], v[28:29], -v[38:39]
	v_add_f64_e32 v[28:29], v[38:39], v[28:29]
	v_fma_f64 v[38:39], v[72:73], s[14:15], v[32:33]
	v_fma_f64 v[208:209], v[68:69], s[14:15], v[16:17]
	v_add_f64_e32 v[16:17], v[20:21], v[212:213]
	v_add_f64_e64 v[20:21], v[212:213], -v[20:21]
	v_add_f64_e32 v[22:23], v[40:41], v[26:27]
	v_add_f64_e64 v[26:27], v[26:27], -v[40:41]
	;; [unrolled: 2-line block ×4, first 2 shown]
	v_add_f64_e64 v[54:55], v[152:153], -v[150:151]
	v_add_f64_e64 v[14:15], v[210:211], -v[208:209]
	v_add_f64_e32 v[18:19], v[208:209], v[210:211]
	v_add_f64_e32 v[30:31], v[34:35], v[40:41]
	v_add_f64_e64 v[34:35], v[40:41], -v[34:35]
	v_add_f64_e64 v[40:41], v[56:57], -v[64:65]
	;; [unrolled: 1-line block ×5, first 2 shown]
	v_add_f64_e32 v[42:43], v[46:47], v[38:39]
	v_add_f64_e64 v[62:63], v[38:39], -v[48:49]
	v_add_f64_e64 v[38:39], v[50:51], -v[40:41]
	v_add_f64_e32 v[64:65], v[50:51], v[40:41]
	v_add_f64_e64 v[66:67], v[40:41], -v[52:53]
	v_mul_f64_e32 v[40:41], s[10:11], v[60:61]
	v_mul_f64_e32 v[70:71], s[22:23], v[44:45]
	v_add_f64_e32 v[68:69], v[42:43], v[48:49]
	v_mul_f64_e32 v[72:73], s[22:23], v[38:39]
	v_mul_f64_e32 v[38:39], s[10:11], v[56:57]
	v_add_f64_e32 v[64:65], v[64:65], v[52:53]
	v_fma_f64 v[40:41], v[58:59], s[20:21], -v[40:41]
	v_fma_f64 v[42:43], v[62:63], s[12:13], -v[70:71]
	s_delay_alu instid0(VALU_DEP_4) | instskip(NEXT) | instid1(VALU_DEP_3)
	v_fma_f64 v[38:39], v[54:55], s[20:21], -v[38:39]
	v_add_f64_e32 v[80:81], v[40:41], v[76:77]
	s_delay_alu instid0(VALU_DEP_3) | instskip(SKIP_1) | instid1(VALU_DEP_4)
	v_fma_f64 v[44:45], v[68:69], s[14:15], v[42:43]
	v_fma_f64 v[42:43], v[66:67], s[12:13], -v[72:73]
	v_add_f64_e32 v[78:79], v[38:39], v[74:75]
	s_delay_alu instid0(VALU_DEP_3) | instskip(NEXT) | instid1(VALU_DEP_3)
	v_add_f64_e32 v[40:41], v[44:45], v[80:81]
	v_fma_f64 v[42:43], v[64:65], s[14:15], v[42:43]
	v_add_f64_e64 v[44:45], v[80:81], -v[44:45]
	v_add_f64_e64 v[80:81], v[158:159], -v[162:163]
	s_delay_alu instid0(VALU_DEP_3)
	v_add_f64_e64 v[38:39], v[78:79], -v[42:43]
	v_add_f64_e32 v[42:43], v[42:43], v[78:79]
	v_add_f64_e64 v[78:79], v[150:151], -v[154:155]
	v_add_f64_e64 v[150:151], v[48:49], -v[46:47]
	v_mul_f64_e32 v[46:47], s[12:13], v[62:63]
	v_mul_f64_e32 v[48:49], s[12:13], v[66:67]
	;; [unrolled: 1-line block ×3, first 2 shown]
	v_add_f64_e64 v[80:81], v[170:171], -v[168:169]
	v_mul_f64_e32 v[62:63], s[26:27], v[78:79]
	v_add_f64_e64 v[78:79], v[168:169], -v[166:167]
	v_fma_f64 v[46:47], v[150:151], s[30:31], -v[46:47]
	v_fma_f64 v[48:49], v[152:153], s[30:31], -v[48:49]
	;; [unrolled: 1-line block ×3, first 2 shown]
	v_fma_f64 v[60:61], v[60:61], s[10:11], v[66:67]
	v_fma_f64 v[50:51], v[54:55], s[28:29], -v[62:63]
	v_fma_f64 v[56:57], v[56:57], s[10:11], v[62:63]
	v_fma_f64 v[54:55], v[68:69], s[14:15], v[46:47]
	;; [unrolled: 1-line block ×3, first 2 shown]
	v_add_f64_e32 v[52:53], v[52:53], v[76:77]
	v_add_f64_e32 v[60:61], v[60:61], v[76:77]
	v_add_f64_e64 v[76:77], v[84:85], -v[92:93]
	v_add_f64_e64 v[84:85], v[184:185], -v[180:181]
	v_add_f64_e32 v[50:51], v[50:51], v[74:75]
	v_add_f64_e64 v[48:49], v[52:53], -v[54:55]
	v_add_f64_e32 v[52:53], v[54:55], v[52:53]
	v_fma_f64 v[54:55], v[150:151], s[24:25], v[70:71]
	v_add_f64_e64 v[70:71], v[130:131], -v[98:99]
	v_fma_f64 v[98:99], v[172:173], s[18:19], v[5:6]
	v_add_f64_e32 v[46:47], v[58:59], v[50:51]
	v_add_f64_e64 v[50:51], v[50:51], -v[58:59]
	v_fma_f64 v[58:59], v[152:153], s[24:25], v[72:73]
	v_add_f64_e64 v[72:73], v[82:83], -v[90:91]
	v_add_f64_e64 v[82:83], v[180:181], -v[174:175]
	v_fma_f64 v[62:63], v[68:69], s[14:15], v[54:55]
	s_delay_alu instid0(VALU_DEP_4)
	v_fma_f64 v[58:59], v[64:65], s[14:15], v[58:59]
	v_add_f64_e32 v[64:65], v[56:57], v[74:75]
	v_add_f64_e64 v[74:75], v[148:149], -v[128:129]
	v_fma_f64 v[128:129], v[186:187], s[18:19], v[7:8]
	v_add_f64_e64 v[56:57], v[60:61], -v[62:63]
	v_add_f64_e32 v[60:61], v[62:63], v[60:61]
	v_add_f64_e64 v[62:63], v[86:87], -v[94:95]
	v_add_f64_e64 v[150:151], v[72:73], -v[70:71]
	v_add_f64_e32 v[54:55], v[58:59], v[64:65]
	v_add_f64_e64 v[58:59], v[64:65], -v[58:59]
	v_add_f64_e64 v[64:65], v[88:89], -v[96:97]
	;; [unrolled: 1-line block ×3, first 2 shown]
	ds_store_b128 v182, v[1:4]
	ds_store_b128 v182, v[30:33] offset:832
	ds_store_b128 v182, v[22:25] offset:1664
	ds_store_b128 v182, v[14:17] offset:2496
	ds_store_b128 v182, v[18:21] offset:3328
	ds_store_b128 v182, v[26:29] offset:4160
	ds_store_b128 v182, v[10:13] offset:5824
	ds_store_b128 v182, v[34:37] offset:4992
	ds_store_b128 v182, v[54:57] offset:6656
	ds_store_b128 v182, v[46:49] offset:7488
	ds_store_b128 v182, v[38:41] offset:8320
	ds_store_b128 v182, v[42:45] offset:9152
	ds_store_b128 v182, v[50:53] offset:9984
	ds_store_b128 v182, v[58:61] offset:10816
	v_add_f64_e64 v[68:69], v[70:71], -v[62:63]
	v_add_f64_e32 v[66:67], v[70:71], v[62:63]
	v_add_f64_e64 v[86:87], v[62:63], -v[72:73]
	v_add_f64_e32 v[62:63], v[74:75], v[64:65]
	v_add_f64_e64 v[88:89], v[74:75], -v[64:65]
	v_add_f64_e64 v[90:91], v[64:65], -v[76:77]
	v_mul_f64_e32 v[64:65], s[10:11], v[84:85]
	v_mul_f64_e32 v[96:97], s[22:23], v[68:69]
	v_add_f64_e32 v[92:93], v[66:67], v[72:73]
	v_mul_f64_e32 v[70:71], s[12:13], v[86:87]
	v_add_f64_e32 v[94:95], v[62:63], v[76:77]
	v_mul_f64_e32 v[88:89], s[22:23], v[88:89]
	v_mul_f64_e32 v[62:63], s[10:11], v[80:81]
	v_fma_f64 v[64:65], v[82:83], s[20:21], -v[64:65]
	v_mul_f64_e32 v[72:73], s[12:13], v[90:91]
	v_fma_f64 v[66:67], v[86:87], s[12:13], -v[96:97]
	v_fma_f64 v[70:71], v[150:151], s[30:31], -v[70:71]
	;; [unrolled: 1-line block ×3, first 2 shown]
	v_add_f64_e32 v[148:149], v[64:65], v[128:129]
	v_fma_f64 v[72:73], v[152:153], s[30:31], -v[72:73]
	v_fma_f64 v[68:69], v[92:93], s[14:15], v[66:67]
	v_fma_f64 v[66:67], v[90:91], s[12:13], -v[88:89]
	v_add_f64_e32 v[130:131], v[62:63], v[98:99]
	s_delay_alu instid0(VALU_DEP_3) | instskip(NEXT) | instid1(VALU_DEP_3)
	v_add_f64_e32 v[64:65], v[68:69], v[148:149]
	v_fma_f64 v[66:67], v[94:95], s[14:15], v[66:67]
	v_add_f64_e64 v[68:69], v[148:149], -v[68:69]
	v_add_f64_e64 v[148:149], v[174:175], -v[184:185]
	s_delay_alu instid0(VALU_DEP_3) | instskip(SKIP_2) | instid1(VALU_DEP_4)
	v_add_f64_e64 v[62:63], v[130:131], -v[66:67]
	v_add_f64_e32 v[66:67], v[66:67], v[130:131]
	v_add_f64_e64 v[130:131], v[166:167], -v[170:171]
	v_mul_f64_e32 v[90:91], s[26:27], v[148:149]
	s_delay_alu instid0(VALU_DEP_2) | instskip(NEXT) | instid1(VALU_DEP_2)
	v_mul_f64_e32 v[86:87], s[26:27], v[130:131]
	v_fma_f64 v[76:77], v[82:83], s[28:29], -v[90:91]
	v_fma_f64 v[82:83], v[94:95], s[14:15], v[72:73]
	v_fma_f64 v[84:85], v[84:85], s[10:11], v[90:91]
	s_delay_alu instid0(VALU_DEP_4)
	v_fma_f64 v[74:75], v[78:79], s[28:29], -v[86:87]
	v_fma_f64 v[78:79], v[92:93], s[14:15], v[70:71]
	v_add_f64_e32 v[76:77], v[76:77], v[128:129]
	v_fma_f64 v[80:81], v[80:81], s[10:11], v[86:87]
	v_add_f64_e32 v[84:85], v[84:85], v[128:129]
	s_mov_b32 s11, 0xbfebb67a
	v_add_f64_e32 v[74:75], v[74:75], v[98:99]
	s_delay_alu instid0(VALU_DEP_4) | instskip(SKIP_2) | instid1(VALU_DEP_4)
	v_add_f64_e64 v[72:73], v[76:77], -v[78:79]
	v_add_f64_e32 v[76:77], v[78:79], v[76:77]
	v_fma_f64 v[78:79], v[150:151], s[24:25], v[96:97]
	v_add_f64_e32 v[70:71], v[82:83], v[74:75]
	v_add_f64_e64 v[74:75], v[74:75], -v[82:83]
	v_fma_f64 v[82:83], v[152:153], s[24:25], v[88:89]
	v_add_f64_e32 v[88:89], v[80:81], v[98:99]
	v_fma_f64 v[86:87], v[92:93], s[14:15], v[78:79]
	s_delay_alu instid0(VALU_DEP_3) | instskip(NEXT) | instid1(VALU_DEP_2)
	v_fma_f64 v[82:83], v[94:95], s[14:15], v[82:83]
	v_add_f64_e64 v[80:81], v[84:85], -v[86:87]
	v_add_f64_e32 v[84:85], v[86:87], v[84:85]
	s_delay_alu instid0(VALU_DEP_3)
	v_add_f64_e32 v[78:79], v[82:83], v[88:89]
	v_add_f64_e64 v[82:83], v[88:89], -v[82:83]
	ds_store_b128 v0, v[5:8] offset:11648
	ds_store_b128 v0, v[78:81] offset:12480
	;; [unrolled: 1-line block ×6, first 2 shown]
	scratch_store_b32 off, v0, off offset:656 ; 4-byte Folded Spill
	ds_store_b128 v0, v[82:85] offset:16640
	global_wb scope:SCOPE_SE
	s_wait_storecnt_dscnt 0x0
	s_barrier_signal -1
	s_barrier_wait -1
	global_inv scope:SCOPE_SE
	scratch_load_b32 v0, off, off offset:640 th:TH_LOAD_LU ; 4-byte Folded Reload
	s_wait_loadcnt 0x0
	s_clause 0x1
	global_load_b128 v[10:13], v0, s[2:3] offset:5792
	global_load_b128 v[22:25], v0, s[2:3] offset:5808
	ds_load_b128 v[0:3], v182 offset:5824
	ds_load_b128 v[4:7], v182 offset:4992
	s_wait_loadcnt_dscnt 0x101
	v_mul_f64_e32 v[8:9], v[2:3], v[12:13]
	scratch_store_b128 off, v[10:13], off offset:640 ; 16-byte Folded Spill
	v_fma_f64 v[16:17], v[0:1], v[10:11], -v[8:9]
	v_mul_f64_e32 v[0:1], v[0:1], v[12:13]
	s_delay_alu instid0(VALU_DEP_1)
	v_fma_f64 v[18:19], v[2:3], v[10:11], v[0:1]
	ds_load_b128 v[0:3], v182 offset:11648
	ds_load_b128 v[8:11], v182 offset:12480
	s_wait_loadcnt 0x0
	scratch_store_b128 off, v[22:25], off offset:712 ; 16-byte Folded Spill
	s_wait_dscnt 0x1
	v_mul_f64_e32 v[12:13], v[2:3], v[24:25]
	s_delay_alu instid0(VALU_DEP_1) | instskip(SKIP_1) | instid1(VALU_DEP_1)
	v_fma_f64 v[20:21], v[0:1], v[22:23], -v[12:13]
	v_mul_f64_e32 v[0:1], v[0:1], v[24:25]
	v_fma_f64 v[22:23], v[2:3], v[22:23], v[0:1]
	scratch_load_b32 v0, off, off offset:888 th:TH_LOAD_LU ; 4-byte Folded Reload
	s_wait_loadcnt 0x0
	v_lshlrev_b32_e32 v0, 4, v0
	s_clause 0x1
	global_load_b128 v[26:29], v0, s[2:3] offset:5792
	global_load_b128 v[30:33], v0, s[2:3] offset:5808
	ds_load_b128 v[0:3], v182 offset:6656
	ds_load_b128 v[12:15], v182 offset:7488
	s_wait_loadcnt_dscnt 0x101
	v_mul_f64_e32 v[24:25], v[2:3], v[28:29]
	scratch_store_b128 off, v[26:29], off offset:904 ; 16-byte Folded Spill
	s_wait_loadcnt 0x0
	scratch_store_b128 off, v[30:33], off offset:888 ; 16-byte Folded Spill
	v_fma_f64 v[24:25], v[0:1], v[26:27], -v[24:25]
	v_mul_f64_e32 v[0:1], v[0:1], v[28:29]
	s_delay_alu instid0(VALU_DEP_1) | instskip(SKIP_1) | instid1(VALU_DEP_1)
	v_fma_f64 v[26:27], v[2:3], v[26:27], v[0:1]
	v_mul_f64_e32 v[0:1], v[10:11], v[32:33]
	v_fma_f64 v[28:29], v[8:9], v[30:31], -v[0:1]
	v_mul_f64_e32 v[0:1], v[8:9], v[32:33]
	s_delay_alu instid0(VALU_DEP_1)
	v_fma_f64 v[30:31], v[10:11], v[30:31], v[0:1]
	scratch_load_b32 v0, off, off offset:920 th:TH_LOAD_LU ; 4-byte Folded Reload
	s_wait_loadcnt 0x0
	v_lshlrev_b32_e32 v0, 4, v0
	s_clause 0x1
	global_load_b128 v[8:11], v0, s[2:3] offset:5792
	global_load_b128 v[32:35], v0, s[2:3] offset:5808
	s_wait_loadcnt_dscnt 0x100
	v_mul_f64_e32 v[0:1], v[14:15], v[10:11]
	scratch_store_b128 off, v[8:11], off offset:936 ; 16-byte Folded Spill
	v_fma_f64 v[40:41], v[12:13], v[8:9], -v[0:1]
	v_mul_f64_e32 v[0:1], v[12:13], v[10:11]
	s_delay_alu instid0(VALU_DEP_1)
	v_fma_f64 v[36:37], v[14:15], v[8:9], v[0:1]
	ds_load_b128 v[0:3], v182 offset:13312
	ds_load_b128 v[8:11], v182 offset:14144
	scratch_load_b32 v97, off, off offset:744 ; 4-byte Folded Reload
	s_wait_loadcnt 0x1
	scratch_store_b128 off, v[32:35], off offset:920 ; 16-byte Folded Spill
	s_wait_loadcnt 0x0
	s_clause 0x1
	global_load_b128 v[50:53], v97, s[2:3] offset:5792
	global_load_b128 v[44:47], v97, s[2:3] offset:5808
	s_wait_dscnt 0x1
	v_mul_f64_e32 v[12:13], v[2:3], v[34:35]
	s_delay_alu instid0(VALU_DEP_1) | instskip(SKIP_1) | instid1(VALU_DEP_1)
	v_fma_f64 v[42:43], v[0:1], v[32:33], -v[12:13]
	v_mul_f64_e32 v[0:1], v[0:1], v[34:35]
	v_fma_f64 v[38:39], v[2:3], v[32:33], v[0:1]
	ds_load_b128 v[0:3], v182 offset:8320
	ds_load_b128 v[12:15], v182 offset:9152
	scratch_load_b32 v96, off, off offset:736 ; 4-byte Folded Reload
	s_wait_loadcnt_dscnt 0x201
	v_mul_f64_e32 v[32:33], v[2:3], v[52:53]
	scratch_store_b128 off, v[50:53], off offset:968 ; 16-byte Folded Spill
	s_wait_loadcnt 0x1
	scratch_store_b128 off, v[44:47], off offset:952 ; 16-byte Folded Spill
	v_fma_f64 v[48:49], v[0:1], v[50:51], -v[32:33]
	v_mul_f64_e32 v[0:1], v[0:1], v[52:53]
	s_delay_alu instid0(VALU_DEP_1) | instskip(SKIP_1) | instid1(VALU_DEP_1)
	v_fma_f64 v[50:51], v[2:3], v[50:51], v[0:1]
	v_mul_f64_e32 v[0:1], v[10:11], v[46:47]
	v_fma_f64 v[52:53], v[8:9], v[44:45], -v[0:1]
	v_mul_f64_e32 v[0:1], v[8:9], v[46:47]
	s_delay_alu instid0(VALU_DEP_1)
	v_fma_f64 v[54:55], v[10:11], v[44:45], v[0:1]
	s_wait_loadcnt 0x0
	s_clause 0x1
	global_load_b128 v[8:11], v96, s[2:3] offset:5792
	global_load_b128 v[32:35], v96, s[2:3] offset:5808
	s_wait_loadcnt_dscnt 0x100
	v_mul_f64_e32 v[0:1], v[14:15], v[10:11]
	scratch_store_b128 off, v[8:11], off offset:1000 ; 16-byte Folded Spill
	v_fma_f64 v[64:65], v[12:13], v[8:9], -v[0:1]
	v_mul_f64_e32 v[0:1], v[12:13], v[10:11]
	s_delay_alu instid0(VALU_DEP_1)
	v_fma_f64 v[60:61], v[14:15], v[8:9], v[0:1]
	ds_load_b128 v[0:3], v182 offset:14976
	ds_load_b128 v[8:11], v182 offset:15808
	scratch_load_b32 v98, off, off offset:752 ; 4-byte Folded Reload
	s_wait_loadcnt 0x1
	scratch_store_b128 off, v[32:35], off offset:984 ; 16-byte Folded Spill
	s_wait_loadcnt 0x0
	s_clause 0x1
	global_load_b128 v[56:59], v98, s[2:3] offset:5792
	global_load_b128 v[44:47], v98, s[2:3] offset:5808
	s_wait_dscnt 0x1
	v_mul_f64_e32 v[12:13], v[2:3], v[34:35]
	s_delay_alu instid0(VALU_DEP_1) | instskip(SKIP_1) | instid1(VALU_DEP_2)
	v_fma_f64 v[66:67], v[0:1], v[32:33], -v[12:13]
	v_mul_f64_e32 v[0:1], v[0:1], v[34:35]
	v_add_f64_e32 v[68:69], v[64:65], v[66:67]
	s_delay_alu instid0(VALU_DEP_2)
	v_fma_f64 v[62:63], v[2:3], v[32:33], v[0:1]
	ds_load_b128 v[0:3], v182 offset:9984
	ds_load_b128 v[12:15], v182 offset:10816
	scratch_load_b32 v99, off, off offset:792 ; 4-byte Folded Reload
	v_add_f64_e32 v[70:71], v[60:61], v[62:63]
	v_add_f64_e64 v[88:89], v[60:61], -v[62:63]
	s_wait_loadcnt_dscnt 0x201
	v_mul_f64_e32 v[32:33], v[2:3], v[58:59]
	scratch_store_b128 off, v[56:59], off offset:1032 ; 16-byte Folded Spill
	s_wait_loadcnt 0x1
	scratch_store_b128 off, v[44:47], off offset:1016 ; 16-byte Folded Spill
	v_fma_f64 v[72:73], v[0:1], v[56:57], -v[32:33]
	v_mul_f64_e32 v[0:1], v[0:1], v[58:59]
	s_delay_alu instid0(VALU_DEP_1) | instskip(SKIP_2) | instid1(VALU_DEP_2)
	v_fma_f64 v[74:75], v[2:3], v[56:57], v[0:1]
	v_mul_f64_e32 v[0:1], v[10:11], v[46:47]
	v_add_f64_e64 v[56:57], v[36:37], -v[38:39]
	v_fma_f64 v[76:77], v[8:9], v[44:45], -v[0:1]
	v_mul_f64_e32 v[0:1], v[8:9], v[46:47]
	v_add_f64_e32 v[46:47], v[36:37], v[38:39]
	s_delay_alu instid0(VALU_DEP_2)
	v_fma_f64 v[78:79], v[10:11], v[44:45], v[0:1]
	s_wait_loadcnt 0x0
	s_clause 0x1
	global_load_b128 v[8:11], v99, s[2:3] offset:5792
	global_load_b128 v[32:35], v99, s[2:3] offset:5808
	s_mov_b32 s2, 0xe8584caa
	s_mov_b32 s3, 0x3febb67a
	s_wait_alu 0xfffe
	s_mov_b32 s10, s2
	v_add_f64_e32 v[44:45], v[40:41], v[42:43]
	s_wait_loadcnt_dscnt 0x100
	v_mul_f64_e32 v[0:1], v[14:15], v[10:11]
	scratch_store_b128 off, v[8:11], off offset:1064 ; 16-byte Folded Spill
	s_wait_loadcnt 0x0
	scratch_store_b128 off, v[32:35], off offset:1048 ; 16-byte Folded Spill
	v_fma_f64 v[80:81], v[12:13], v[8:9], -v[0:1]
	v_mul_f64_e32 v[0:1], v[12:13], v[10:11]
	v_add_f64_e32 v[12:13], v[16:17], v[20:21]
	s_delay_alu instid0(VALU_DEP_2) | instskip(SKIP_3) | instid1(VALU_DEP_1)
	v_fma_f64 v[82:83], v[14:15], v[8:9], v[0:1]
	ds_load_b128 v[0:3], v182 offset:16640
	s_wait_dscnt 0x0
	v_mul_f64_e32 v[8:9], v[2:3], v[34:35]
	v_fma_f64 v[84:85], v[0:1], v[32:33], -v[8:9]
	v_mul_f64_e32 v[0:1], v[0:1], v[34:35]
	s_delay_alu instid0(VALU_DEP_1)
	v_fma_f64 v[86:87], v[2:3], v[32:33], v[0:1]
	ds_load_b128 v[0:3], v182
	ds_load_b128 v[8:11], v182 offset:832
	s_wait_dscnt 0x1
	v_fma_f64 v[32:33], v[12:13], -0.5, v[0:1]
	v_add_f64_e32 v[12:13], v[18:19], v[22:23]
	v_add_f64_e32 v[0:1], v[0:1], v[16:17]
	s_delay_alu instid0(VALU_DEP_2) | instskip(SKIP_2) | instid1(VALU_DEP_4)
	v_fma_f64 v[34:35], v[12:13], -0.5, v[2:3]
	v_add_f64_e32 v[2:3], v[2:3], v[18:19]
	v_add_f64_e64 v[18:19], v[18:19], -v[22:23]
	v_add_f64_e32 v[12:13], v[0:1], v[20:21]
	v_add_f64_e64 v[0:1], v[16:17], -v[20:21]
	s_delay_alu instid0(VALU_DEP_4)
	v_add_f64_e32 v[14:15], v[2:3], v[22:23]
	v_add_f64_e32 v[2:3], v[26:27], v[30:31]
	v_fma_f64 v[16:17], v[18:19], s[2:3], v[32:33]
	s_wait_alu 0xfffe
	v_fma_f64 v[20:21], v[18:19], s[10:11], v[32:33]
	v_fma_f64 v[18:19], v[0:1], s[10:11], v[34:35]
	;; [unrolled: 1-line block ×3, first 2 shown]
	v_add_f64_e32 v[0:1], v[24:25], v[28:29]
	s_wait_dscnt 0x0
	v_fma_f64 v[2:3], v[2:3], -0.5, v[10:11]
	v_add_f64_e32 v[10:11], v[10:11], v[26:27]
	v_add_f64_e64 v[26:27], v[26:27], -v[30:31]
	s_delay_alu instid0(VALU_DEP_4) | instskip(SKIP_1) | instid1(VALU_DEP_4)
	v_fma_f64 v[0:1], v[0:1], -0.5, v[8:9]
	v_add_f64_e32 v[8:9], v[8:9], v[24:25]
	v_add_f64_e32 v[10:11], v[10:11], v[30:31]
	v_add_f64_e64 v[30:31], v[24:25], -v[28:29]
	s_delay_alu instid0(VALU_DEP_4) | instskip(NEXT) | instid1(VALU_DEP_4)
	v_fma_f64 v[24:25], v[26:27], s[2:3], v[0:1]
	v_add_f64_e32 v[8:9], v[8:9], v[28:29]
	v_fma_f64 v[28:29], v[26:27], s[10:11], v[0:1]
	s_delay_alu instid0(VALU_DEP_4)
	v_fma_f64 v[26:27], v[30:31], s[10:11], v[2:3]
	v_fma_f64 v[30:31], v[30:31], s[2:3], v[2:3]
	ds_load_b128 v[0:3], v182 offset:1664
	ds_load_b128 v[32:35], v182 offset:2496
	s_wait_dscnt 0x1
	v_fma_f64 v[44:45], v[44:45], -0.5, v[0:1]
	v_fma_f64 v[46:47], v[46:47], -0.5, v[2:3]
	v_add_f64_e32 v[2:3], v[2:3], v[36:37]
	v_add_f64_e32 v[0:1], v[0:1], v[40:41]
	s_delay_alu instid0(VALU_DEP_2) | instskip(NEXT) | instid1(VALU_DEP_2)
	v_add_f64_e32 v[38:39], v[2:3], v[38:39]
	v_add_f64_e32 v[36:37], v[0:1], v[42:43]
	v_add_f64_e64 v[0:1], v[40:41], -v[42:43]
	v_add_f64_e32 v[2:3], v[50:51], v[54:55]
	v_fma_f64 v[40:41], v[56:57], s[2:3], v[44:45]
	v_fma_f64 v[44:45], v[56:57], s[10:11], v[44:45]
	s_delay_alu instid0(VALU_DEP_4)
	v_fma_f64 v[42:43], v[0:1], s[10:11], v[46:47]
	v_fma_f64 v[46:47], v[0:1], s[2:3], v[46:47]
	v_add_f64_e32 v[0:1], v[48:49], v[52:53]
	s_wait_dscnt 0x0
	v_fma_f64 v[2:3], v[2:3], -0.5, v[34:35]
	v_add_f64_e32 v[34:35], v[34:35], v[50:51]
	v_add_f64_e64 v[50:51], v[50:51], -v[54:55]
	s_delay_alu instid0(VALU_DEP_4) | instskip(SKIP_1) | instid1(VALU_DEP_4)
	v_fma_f64 v[0:1], v[0:1], -0.5, v[32:33]
	v_add_f64_e32 v[32:33], v[32:33], v[48:49]
	v_add_f64_e32 v[34:35], v[34:35], v[54:55]
	v_add_f64_e64 v[54:55], v[48:49], -v[52:53]
	s_delay_alu instid0(VALU_DEP_4) | instskip(NEXT) | instid1(VALU_DEP_4)
	v_fma_f64 v[48:49], v[50:51], s[2:3], v[0:1]
	v_add_f64_e32 v[32:33], v[32:33], v[52:53]
	v_fma_f64 v[52:53], v[50:51], s[10:11], v[0:1]
	s_delay_alu instid0(VALU_DEP_4)
	v_fma_f64 v[50:51], v[54:55], s[10:11], v[2:3]
	v_fma_f64 v[54:55], v[54:55], s[2:3], v[2:3]
	ds_load_b128 v[0:3], v182 offset:3328
	ds_load_b128 v[56:59], v182 offset:4160
	s_wait_dscnt 0x1
	v_fma_f64 v[68:69], v[68:69], -0.5, v[0:1]
	v_add_f64_e32 v[0:1], v[0:1], v[64:65]
	v_fma_f64 v[70:71], v[70:71], -0.5, v[2:3]
	v_add_f64_e32 v[2:3], v[2:3], v[60:61]
	s_delay_alu instid0(VALU_DEP_3) | instskip(SKIP_1) | instid1(VALU_DEP_3)
	v_add_f64_e32 v[60:61], v[0:1], v[66:67]
	v_add_f64_e64 v[0:1], v[64:65], -v[66:67]
	v_add_f64_e32 v[62:63], v[2:3], v[62:63]
	v_add_f64_e32 v[2:3], v[74:75], v[78:79]
	v_fma_f64 v[64:65], v[88:89], s[2:3], v[68:69]
	v_fma_f64 v[68:69], v[88:89], s[10:11], v[68:69]
	v_add_f64_e64 v[88:89], v[72:73], -v[76:77]
	v_fma_f64 v[66:67], v[0:1], s[10:11], v[70:71]
	v_fma_f64 v[70:71], v[0:1], s[2:3], v[70:71]
	v_add_f64_e32 v[0:1], v[72:73], v[76:77]
	s_wait_dscnt 0x0
	v_fma_f64 v[2:3], v[2:3], -0.5, v[58:59]
	v_add_f64_e32 v[58:59], v[58:59], v[74:75]
	v_add_f64_e64 v[74:75], v[74:75], -v[78:79]
	s_delay_alu instid0(VALU_DEP_4) | instskip(SKIP_1) | instid1(VALU_DEP_4)
	v_fma_f64 v[0:1], v[0:1], -0.5, v[56:57]
	v_add_f64_e32 v[56:57], v[56:57], v[72:73]
	v_add_f64_e32 v[58:59], v[58:59], v[78:79]
	v_fma_f64 v[78:79], v[88:89], s[2:3], v[2:3]
	s_delay_alu instid0(VALU_DEP_4) | instskip(NEXT) | instid1(VALU_DEP_4)
	v_fma_f64 v[72:73], v[74:75], s[2:3], v[0:1]
	v_add_f64_e32 v[56:57], v[56:57], v[76:77]
	v_fma_f64 v[76:77], v[74:75], s[10:11], v[0:1]
	v_add_f64_e32 v[0:1], v[80:81], v[84:85]
	;; [unrolled: 2-line block ×3, first 2 shown]
	s_delay_alu instid0(VALU_DEP_3) | instskip(SKIP_1) | instid1(VALU_DEP_3)
	v_fma_f64 v[0:1], v[0:1], -0.5, v[4:5]
	v_add_f64_e32 v[4:5], v[4:5], v[80:81]
	v_fma_f64 v[2:3], v[2:3], -0.5, v[6:7]
	v_add_f64_e32 v[6:7], v[6:7], v[82:83]
	v_add_f64_e64 v[82:83], v[82:83], -v[86:87]
	s_delay_alu instid0(VALU_DEP_4) | instskip(SKIP_1) | instid1(VALU_DEP_4)
	v_add_f64_e32 v[4:5], v[4:5], v[84:85]
	v_add_f64_e64 v[84:85], v[80:81], -v[84:85]
	v_add_f64_e32 v[6:7], v[6:7], v[86:87]
	s_delay_alu instid0(VALU_DEP_4) | instskip(SKIP_1) | instid1(VALU_DEP_4)
	v_fma_f64 v[80:81], v[82:83], s[2:3], v[0:1]
	v_fma_f64 v[0:1], v[82:83], s[10:11], v[0:1]
	;; [unrolled: 1-line block ×4, first 2 shown]
	ds_store_b128 v182, v[12:15]
	ds_store_b128 v182, v[8:11] offset:832
	ds_store_b128 v182, v[36:39] offset:1664
	;; [unrolled: 1-line block ×20, first 2 shown]
	global_wb scope:SCOPE_SE
	s_wait_storecnt_dscnt 0x0
	s_barrier_signal -1
	s_barrier_wait -1
	global_inv scope:SCOPE_SE
	scratch_load_b64 v[4:5], off, off offset:4 ; 8-byte Folded Reload
	s_add_nc_u64 s[2:3], s[16:17], 0x4440
	s_wait_loadcnt 0x0
	global_load_b128 v[4:7], v[4:5], off offset:17472
	ds_load_b128 v[8:11], v182
	ds_load_b128 v[12:15], v182 offset:832
	s_wait_loadcnt_dscnt 0x1
	v_mul_f64_e32 v[16:17], v[10:11], v[6:7]
	v_mul_f64_e32 v[18:19], v[8:9], v[6:7]
	s_delay_alu instid0(VALU_DEP_2) | instskip(NEXT) | instid1(VALU_DEP_2)
	v_fma_f64 v[6:7], v[8:9], v[4:5], -v[16:17]
	v_fma_f64 v[8:9], v[10:11], v[4:5], v[18:19]
	global_load_b128 v[16:19], v182, s[2:3] offset:8736
	ds_load_b128 v[20:23], v182 offset:8736
	ds_load_b128 v[24:27], v182 offset:9568
	s_clause 0x2
	global_load_b128 v[28:31], v182, s[2:3] offset:7488
	global_load_b128 v[32:35], v182, s[2:3] offset:832
	;; [unrolled: 1-line block ×3, first 2 shown]
	s_wait_loadcnt_dscnt 0x301
	v_mul_f64_e32 v[4:5], v[22:23], v[18:19]
	v_mul_f64_e32 v[10:11], v[20:21], v[18:19]
	s_delay_alu instid0(VALU_DEP_2) | instskip(NEXT) | instid1(VALU_DEP_2)
	v_fma_f64 v[18:19], v[20:21], v[16:17], -v[4:5]
	v_fma_f64 v[20:21], v[22:23], v[16:17], v[10:11]
	s_wait_loadcnt 0x1
	v_mul_f64_e32 v[4:5], v[14:15], v[34:35]
	v_mul_f64_e32 v[16:17], v[12:13], v[34:35]
	s_delay_alu instid0(VALU_DEP_2) | instskip(NEXT) | instid1(VALU_DEP_2)
	v_fma_f64 v[10:11], v[12:13], v[32:33], -v[4:5]
	v_fma_f64 v[12:13], v[14:15], v[32:33], v[16:17]
	s_clause 0x1
	global_load_b128 v[14:17], v182, s[2:3] offset:9568
	global_load_b128 v[32:35], v182, s[2:3] offset:10400
	s_wait_loadcnt_dscnt 0x100
	v_mul_f64_e32 v[4:5], v[26:27], v[16:17]
	v_mul_f64_e32 v[16:17], v[24:25], v[16:17]
	s_delay_alu instid0(VALU_DEP_2) | instskip(NEXT) | instid1(VALU_DEP_2)
	v_fma_f64 v[22:23], v[24:25], v[14:15], -v[4:5]
	v_fma_f64 v[24:25], v[26:27], v[14:15], v[16:17]
	ds_load_b128 v[14:17], v182 offset:1664
	ds_load_b128 v[40:43], v182 offset:2496
	s_wait_dscnt 0x1
	v_mul_f64_e32 v[4:5], v[16:17], v[38:39]
	v_mul_f64_e32 v[26:27], v[14:15], v[38:39]
	s_delay_alu instid0(VALU_DEP_2) | instskip(NEXT) | instid1(VALU_DEP_2)
	v_fma_f64 v[14:15], v[14:15], v[36:37], -v[4:5]
	v_fma_f64 v[16:17], v[16:17], v[36:37], v[26:27]
	ds_load_b128 v[36:39], v182 offset:10400
	ds_load_b128 v[44:47], v182 offset:11232
	s_clause 0x1
	global_load_b128 v[48:51], v182, s[2:3] offset:2496
	global_load_b128 v[52:55], v182, s[2:3] offset:3328
	s_wait_loadcnt_dscnt 0x201
	v_mul_f64_e32 v[4:5], v[38:39], v[34:35]
	v_mul_f64_e32 v[26:27], v[36:37], v[34:35]
	s_delay_alu instid0(VALU_DEP_2) | instskip(NEXT) | instid1(VALU_DEP_2)
	v_fma_f64 v[34:35], v[36:37], v[32:33], -v[4:5]
	v_fma_f64 v[36:37], v[38:39], v[32:33], v[26:27]
	s_wait_loadcnt 0x1
	v_mul_f64_e32 v[4:5], v[42:43], v[50:51]
	v_mul_f64_e32 v[26:27], v[40:41], v[50:51]
	s_delay_alu instid0(VALU_DEP_2) | instskip(NEXT) | instid1(VALU_DEP_2)
	v_fma_f64 v[38:39], v[40:41], v[48:49], -v[4:5]
	v_fma_f64 v[40:41], v[42:43], v[48:49], v[26:27]
	s_clause 0x1
	global_load_b128 v[48:51], v182, s[2:3] offset:11232
	global_load_b128 v[56:59], v182, s[2:3] offset:12064
	s_wait_loadcnt_dscnt 0x100
	v_mul_f64_e32 v[4:5], v[46:47], v[50:51]
	v_mul_f64_e32 v[26:27], v[44:45], v[50:51]
	s_delay_alu instid0(VALU_DEP_2) | instskip(NEXT) | instid1(VALU_DEP_2)
	v_fma_f64 v[42:43], v[44:45], v[48:49], -v[4:5]
	v_fma_f64 v[44:45], v[46:47], v[48:49], v[26:27]
	ds_load_b128 v[46:49], v182 offset:3328
	ds_load_b128 v[60:63], v182 offset:4160
	s_wait_dscnt 0x1
	v_mul_f64_e32 v[4:5], v[48:49], v[54:55]
	v_mul_f64_e32 v[26:27], v[46:47], v[54:55]
	s_delay_alu instid0(VALU_DEP_2) | instskip(NEXT) | instid1(VALU_DEP_2)
	v_fma_f64 v[46:47], v[46:47], v[52:53], -v[4:5]
	v_fma_f64 v[48:49], v[48:49], v[52:53], v[26:27]
	ds_load_b128 v[50:53], v182 offset:12064
	ds_load_b128 v[64:67], v182 offset:12896
	s_wait_loadcnt_dscnt 0x1
	v_mul_f64_e32 v[4:5], v[52:53], v[58:59]
	v_mul_f64_e32 v[26:27], v[50:51], v[58:59]
	s_delay_alu instid0(VALU_DEP_2) | instskip(NEXT) | instid1(VALU_DEP_2)
	v_fma_f64 v[50:51], v[50:51], v[56:57], -v[4:5]
	v_fma_f64 v[52:53], v[52:53], v[56:57], v[26:27]
	s_clause 0x1
	global_load_b128 v[54:57], v182, s[2:3] offset:4160
	global_load_b128 v[68:71], v182, s[2:3] offset:4992
	s_wait_loadcnt 0x1
	v_mul_f64_e32 v[4:5], v[62:63], v[56:57]
	v_mul_f64_e32 v[26:27], v[60:61], v[56:57]
	s_delay_alu instid0(VALU_DEP_2) | instskip(NEXT) | instid1(VALU_DEP_2)
	v_fma_f64 v[56:57], v[60:61], v[54:55], -v[4:5]
	v_fma_f64 v[58:59], v[62:63], v[54:55], v[26:27]
	s_clause 0x1
	global_load_b128 v[60:63], v182, s[2:3] offset:12896
	global_load_b128 v[72:75], v182, s[2:3] offset:13728
	ds_load_b128 v[76:79], v182 offset:4992
	ds_load_b128 v[80:83], v182 offset:5824
	s_wait_loadcnt_dscnt 0x102
	v_mul_f64_e32 v[4:5], v[66:67], v[62:63]
	v_mul_f64_e32 v[26:27], v[64:65], v[62:63]
	s_delay_alu instid0(VALU_DEP_2) | instskip(NEXT) | instid1(VALU_DEP_2)
	v_fma_f64 v[62:63], v[64:65], v[60:61], -v[4:5]
	v_fma_f64 v[64:65], v[66:67], v[60:61], v[26:27]
	s_wait_dscnt 0x1
	v_mul_f64_e32 v[4:5], v[78:79], v[70:71]
	v_mul_f64_e32 v[26:27], v[76:77], v[70:71]
	s_delay_alu instid0(VALU_DEP_2) | instskip(NEXT) | instid1(VALU_DEP_2)
	v_fma_f64 v[66:67], v[76:77], v[68:69], -v[4:5]
	v_fma_f64 v[68:69], v[78:79], v[68:69], v[26:27]
	ds_load_b128 v[76:79], v182 offset:13728
	ds_load_b128 v[84:87], v182 offset:14560
	s_wait_loadcnt_dscnt 0x1
	v_mul_f64_e32 v[4:5], v[78:79], v[74:75]
	v_mul_f64_e32 v[26:27], v[76:77], v[74:75]
	s_delay_alu instid0(VALU_DEP_2)
	v_fma_f64 v[70:71], v[76:77], v[72:73], -v[4:5]
	s_clause 0x1
	global_load_b128 v[74:77], v182, s[2:3] offset:5824
	global_load_b128 v[88:91], v182, s[2:3] offset:6656
	v_fma_f64 v[72:73], v[78:79], v[72:73], v[26:27]
	s_wait_loadcnt 0x1
	v_mul_f64_e32 v[4:5], v[82:83], v[76:77]
	v_mul_f64_e32 v[26:27], v[80:81], v[76:77]
	s_delay_alu instid0(VALU_DEP_2) | instskip(NEXT) | instid1(VALU_DEP_2)
	v_fma_f64 v[76:77], v[80:81], v[74:75], -v[4:5]
	v_fma_f64 v[78:79], v[82:83], v[74:75], v[26:27]
	s_clause 0x1
	global_load_b128 v[80:83], v182, s[2:3] offset:14560
	global_load_b128 v[92:95], v182, s[2:3] offset:15392
	ds_load_b128 v[128:131], v182 offset:6656
	ds_load_b128 v[148:151], v182 offset:7488
	s_wait_loadcnt_dscnt 0x102
	v_mul_f64_e32 v[4:5], v[86:87], v[82:83]
	v_mul_f64_e32 v[26:27], v[84:85], v[82:83]
	s_delay_alu instid0(VALU_DEP_2) | instskip(NEXT) | instid1(VALU_DEP_2)
	v_fma_f64 v[82:83], v[84:85], v[80:81], -v[4:5]
	v_fma_f64 v[84:85], v[86:87], v[80:81], v[26:27]
	s_wait_dscnt 0x1
	v_mul_f64_e32 v[4:5], v[130:131], v[90:91]
	v_mul_f64_e32 v[26:27], v[128:129], v[90:91]
	s_delay_alu instid0(VALU_DEP_2) | instskip(NEXT) | instid1(VALU_DEP_2)
	v_fma_f64 v[86:87], v[128:129], v[88:89], -v[4:5]
	v_fma_f64 v[88:89], v[130:131], v[88:89], v[26:27]
	ds_load_b128 v[128:131], v182 offset:15392
	ds_load_b128 v[152:155], v182 offset:16224
	s_wait_loadcnt_dscnt 0x1
	v_mul_f64_e32 v[4:5], v[130:131], v[94:95]
	v_mul_f64_e32 v[26:27], v[128:129], v[94:95]
	s_delay_alu instid0(VALU_DEP_2) | instskip(SKIP_2) | instid1(VALU_DEP_4)
	v_fma_f64 v[90:91], v[128:129], v[92:93], -v[4:5]
	v_mul_f64_e32 v[4:5], v[150:151], v[30:31]
	v_mul_f64_e32 v[30:31], v[148:149], v[30:31]
	v_fma_f64 v[92:93], v[130:131], v[92:93], v[26:27]
	s_delay_alu instid0(VALU_DEP_3) | instskip(NEXT) | instid1(VALU_DEP_3)
	v_fma_f64 v[26:27], v[148:149], v[28:29], -v[4:5]
	v_fma_f64 v[28:29], v[150:151], v[28:29], v[30:31]
	global_load_b128 v[30:33], v182, s[2:3] offset:16224
	s_wait_loadcnt_dscnt 0x0
	v_mul_f64_e32 v[4:5], v[154:155], v[32:33]
	v_mul_f64_e32 v[32:33], v[152:153], v[32:33]
	s_delay_alu instid0(VALU_DEP_2) | instskip(NEXT) | instid1(VALU_DEP_2)
	v_fma_f64 v[128:129], v[152:153], v[30:31], -v[4:5]
	v_fma_f64 v[130:131], v[154:155], v[30:31], v[32:33]
	ds_store_b128 v182, v[6:9]
	ds_store_b128 v182, v[10:13] offset:832
	ds_store_b128 v182, v[18:21] offset:8736
	;; [unrolled: 1-line block ×19, first 2 shown]
	s_and_saveexec_b32 s1, vcc_lo
	s_cbranch_execz .LBB0_17
; %bb.16:
	s_wait_alu 0xfffe
	v_add_co_u32 v8, s2, s2, v182
	s_wait_alu 0xf1ff
	v_add_co_ci_u32_e64 v9, null, s3, 0, s2
	s_clause 0x1
	global_load_b128 v[4:7], v[8:9], off offset:8320
	global_load_b128 v[8:11], v[8:9], off offset:17056
	ds_load_b128 v[12:15], v182 offset:8320
	ds_load_b128 v[16:19], v182 offset:17056
	s_wait_loadcnt_dscnt 0x101
	v_mul_f64_e32 v[20:21], v[14:15], v[6:7]
	v_mul_f64_e32 v[6:7], v[12:13], v[6:7]
	s_wait_loadcnt_dscnt 0x0
	v_mul_f64_e32 v[22:23], v[18:19], v[10:11]
	v_mul_f64_e32 v[24:25], v[16:17], v[10:11]
	s_delay_alu instid0(VALU_DEP_4) | instskip(NEXT) | instid1(VALU_DEP_4)
	v_fma_f64 v[10:11], v[12:13], v[4:5], -v[20:21]
	v_fma_f64 v[12:13], v[14:15], v[4:5], v[6:7]
	s_delay_alu instid0(VALU_DEP_4) | instskip(NEXT) | instid1(VALU_DEP_4)
	v_fma_f64 v[4:5], v[16:17], v[8:9], -v[22:23]
	v_fma_f64 v[6:7], v[18:19], v[8:9], v[24:25]
	ds_store_b128 v182, v[10:13] offset:8320
	ds_store_b128 v182, v[4:7] offset:17056
.LBB0_17:
	s_wait_alu 0xfffe
	s_or_b32 exec_lo, exec_lo, s1
	global_wb scope:SCOPE_SE
	s_wait_dscnt 0x0
	s_barrier_signal -1
	s_barrier_wait -1
	global_inv scope:SCOPE_SE
	ds_load_b128 v[76:79], v182
	ds_load_b128 v[68:71], v182 offset:832
	ds_load_b128 v[128:131], v182 offset:8736
	;; [unrolled: 1-line block ×19, first 2 shown]
	s_mov_b32 s1, exec_lo
	s_clause 0x5
	scratch_load_b128 v[132:135], off, off offset:28
	scratch_load_b128 v[136:139], off, off offset:44
	;; [unrolled: 1-line block ×6, first 2 shown]
	s_wait_alu 0xfffe
	s_and_b32 s2, s1, vcc_lo
	s_wait_alu 0xfffe
	s_mov_b32 exec_lo, s2
	s_cbranch_execz .LBB0_19
; %bb.18:
	ds_load_b128 v[0:3], v182 offset:8320
	ds_load_b128 v[196:199], v182 offset:17056
.LBB0_19:
	s_or_b32 exec_lo, exec_lo, s1
	global_wb scope:SCOPE_SE
	s_wait_loadcnt_dscnt 0x0
	s_barrier_signal -1
	s_barrier_wait -1
	global_inv scope:SCOPE_SE
	scratch_load_b32 v84, off, off offset:760 th:TH_LOAD_LU ; 4-byte Folded Reload
	v_add_f64_e64 v[80:81], v[76:77], -v[128:129]
	v_add_f64_e64 v[82:83], v[78:79], -v[130:131]
	;; [unrolled: 1-line block ×18, first 2 shown]
	v_fma_f64 v[76:77], v[76:77], 2.0, -v[80:81]
	v_fma_f64 v[78:79], v[78:79], 2.0, -v[82:83]
	;; [unrolled: 1-line block ×12, first 2 shown]
	s_wait_loadcnt 0x0
	ds_store_b128 v84, v[80:83] offset:16
	ds_store_b128 v84, v[76:79]
	scratch_load_b32 v76, off, off offset:776 th:TH_LOAD_LU ; 4-byte Folded Reload
	v_fma_f64 v[20:21], v[20:21], 2.0, -v[40:41]
	v_fma_f64 v[22:23], v[22:23], 2.0, -v[42:43]
	;; [unrolled: 1-line block ×4, first 2 shown]
	s_wait_loadcnt 0x0
	ds_store_b128 v76, v[68:71]
	ds_store_b128 v76, v[72:75] offset:16
	scratch_load_b32 v68, off, off offset:844 th:TH_LOAD_LU ; 4-byte Folded Reload
	s_wait_loadcnt 0x0
	ds_store_b128 v68, v[60:63]
	ds_store_b128 v68, v[64:67] offset:16
	v_add_f64_e64 v[60:61], v[16:17], -v[44:45]
	v_add_f64_e64 v[62:63], v[18:19], -v[46:47]
	;; [unrolled: 1-line block ×3, first 2 shown]
	v_fma_f64 v[64:65], v[24:25], 2.0, -v[52:53]
	v_fma_f64 v[66:67], v[26:27], 2.0, -v[54:55]
	v_add_f64_e64 v[46:47], v[2:3], -v[198:199]
	v_fma_f64 v[16:17], v[16:17], 2.0, -v[60:61]
	v_fma_f64 v[18:19], v[18:19], 2.0, -v[62:63]
	;; [unrolled: 1-line block ×3, first 2 shown]
	ds_store_b128 v97, v[4:7]
	ds_store_b128 v97, v[56:59] offset:16
	ds_store_b128 v96, v[8:11]
	ds_store_b128 v96, v[36:39] offset:16
	;; [unrolled: 2-line block ×4, first 2 shown]
	scratch_load_b32 v0, off, off offset:824 th:TH_LOAD_LU ; 4-byte Folded Reload
	v_fma_f64 v[26:27], v[2:3], 2.0, -v[46:47]
	s_wait_loadcnt 0x0
	ds_store_b128 v0, v[20:23]
	ds_store_b128 v0, v[40:43] offset:16
	scratch_load_b32 v0, off, off offset:840 th:TH_LOAD_LU ; 4-byte Folded Reload
	s_wait_loadcnt 0x0
	ds_store_b128 v0, v[64:67]
	ds_store_b128 v0, v[52:55] offset:16
	scratch_load_b32 v0, off, off offset:808 th:TH_LOAD_LU ; 4-byte Folded Reload
	s_wait_loadcnt 0x0
	ds_store_b128 v0, v[28:31]
	ds_store_b128 v0, v[48:51] offset:16
	s_and_saveexec_b32 s1, vcc_lo
	s_cbranch_execz .LBB0_21
; %bb.20:
	scratch_load_b32 v0, off, off offset:1084 th:TH_LOAD_LU ; 4-byte Folded Reload
	s_wait_loadcnt 0x0
	ds_store_b128 v0, v[24:27]
	ds_store_b128 v0, v[44:47] offset:16
.LBB0_21:
	s_wait_alu 0xfffe
	s_or_b32 exec_lo, exec_lo, s1
	global_wb scope:SCOPE_SE
	s_wait_dscnt 0x0
	s_barrier_signal -1
	s_barrier_wait -1
	global_inv scope:SCOPE_SE
	ds_load_b128 v[40:43], v182
	ds_load_b128 v[36:39], v182 offset:832
	ds_load_b128 v[128:131], v182 offset:8736
	;; [unrolled: 1-line block ×19, first 2 shown]
	s_and_saveexec_b32 s1, vcc_lo
	s_cbranch_execz .LBB0_23
; %bb.22:
	ds_load_b128 v[24:27], v182 offset:8320
	ds_load_b128 v[44:47], v182 offset:17056
.LBB0_23:
	s_wait_alu 0xfffe
	s_or_b32 exec_lo, exec_lo, s1
	s_wait_dscnt 0xc
	v_mul_f64_e32 v[88:89], v[202:203], v[70:71]
	global_wb scope:SCOPE_SE
	s_wait_dscnt 0x0
	s_barrier_signal -1
	s_barrier_wait -1
	global_inv scope:SCOPE_SE
	v_mul_f64_e32 v[80:81], v[202:203], v[130:131]
	v_mul_f64_e32 v[82:83], v[202:203], v[128:129]
	;; [unrolled: 1-line block ×4, first 2 shown]
	v_fma_f64 v[88:89], v[200:201], v[68:69], v[88:89]
	v_mul_f64_e32 v[68:69], v[202:203], v[68:69]
	v_fma_f64 v[80:81], v[200:201], v[128:129], v[80:81]
	v_fma_f64 v[82:83], v[200:201], v[130:131], -v[82:83]
	v_fma_f64 v[84:85], v[200:201], v[76:77], v[84:85]
	v_mul_f64_e32 v[76:77], v[202:203], v[76:77]
	v_fma_f64 v[86:87], v[200:201], v[254:255], -v[86:87]
	v_fma_f64 v[68:69], v[200:201], v[70:71], -v[68:69]
	v_mul_f64_e32 v[70:71], v[202:203], v[74:75]
	s_delay_alu instid0(VALU_DEP_4) | instskip(SKIP_1) | instid1(VALU_DEP_3)
	v_fma_f64 v[76:77], v[200:201], v[78:79], -v[76:77]
	v_mul_f64_e32 v[78:79], v[202:203], v[254:255]
	v_fma_f64 v[70:71], v[200:201], v[72:73], v[70:71]
	v_mul_f64_e32 v[72:73], v[202:203], v[72:73]
	s_delay_alu instid0(VALU_DEP_3) | instskip(NEXT) | instid1(VALU_DEP_2)
	v_fma_f64 v[78:79], v[200:201], v[252:253], v[78:79]
	v_fma_f64 v[72:73], v[200:201], v[74:75], -v[72:73]
	v_mul_f64_e32 v[74:75], v[202:203], v[62:63]
	s_delay_alu instid0(VALU_DEP_1) | instskip(SKIP_1) | instid1(VALU_DEP_1)
	v_fma_f64 v[74:75], v[200:201], v[60:61], v[74:75]
	v_mul_f64_e32 v[60:61], v[202:203], v[60:61]
	v_fma_f64 v[60:61], v[200:201], v[62:63], -v[60:61]
	v_mul_f64_e32 v[62:63], v[202:203], v[66:67]
	s_delay_alu instid0(VALU_DEP_1) | instskip(SKIP_1) | instid1(VALU_DEP_1)
	v_fma_f64 v[62:63], v[200:201], v[64:65], v[62:63]
	v_mul_f64_e32 v[64:65], v[202:203], v[64:65]
	v_fma_f64 v[64:65], v[200:201], v[66:67], -v[64:65]
	v_mul_f64_e32 v[66:67], v[202:203], v[54:55]
	s_delay_alu instid0(VALU_DEP_1) | instskip(SKIP_1) | instid1(VALU_DEP_2)
	v_fma_f64 v[66:67], v[200:201], v[52:53], v[66:67]
	v_mul_f64_e32 v[52:53], v[202:203], v[52:53]
	v_add_f64_e64 v[252:253], v[0:1], -v[66:67]
	s_delay_alu instid0(VALU_DEP_2) | instskip(SKIP_1) | instid1(VALU_DEP_3)
	v_fma_f64 v[90:91], v[200:201], v[54:55], -v[52:53]
	v_mul_f64_e32 v[52:53], v[202:203], v[58:59]
	v_fma_f64 v[0:1], v[0:1], 2.0, -v[252:253]
	s_delay_alu instid0(VALU_DEP_3) | instskip(NEXT) | instid1(VALU_DEP_3)
	v_add_f64_e64 v[254:255], v[2:3], -v[90:91]
	v_fma_f64 v[92:93], v[200:201], v[56:57], v[52:53]
	v_mul_f64_e32 v[52:53], v[202:203], v[56:57]
	s_delay_alu instid0(VALU_DEP_3) | instskip(NEXT) | instid1(VALU_DEP_2)
	v_fma_f64 v[2:3], v[2:3], 2.0, -v[254:255]
	v_fma_f64 v[56:57], v[200:201], v[58:59], -v[52:53]
	v_mul_f64_e32 v[52:53], v[202:203], v[50:51]
	s_delay_alu instid0(VALU_DEP_1) | instskip(SKIP_1) | instid1(VALU_DEP_1)
	v_fma_f64 v[58:59], v[200:201], v[48:49], v[52:53]
	v_mul_f64_e32 v[48:49], v[202:203], v[48:49]
	v_fma_f64 v[94:95], v[200:201], v[50:51], -v[48:49]
	v_mul_f64_e32 v[48:49], v[202:203], v[46:47]
	s_delay_alu instid0(VALU_DEP_1) | instskip(SKIP_3) | instid1(VALU_DEP_2)
	v_fma_f64 v[96:97], v[200:201], v[44:45], v[48:49]
	scratch_load_b32 v48, off, off offset:884 th:TH_LOAD_LU ; 4-byte Folded Reload
	v_mul_f64_e32 v[44:45], v[202:203], v[44:45]
	v_add_f64_e64 v[202:203], v[10:11], -v[64:65]
	v_fma_f64 v[98:99], v[200:201], v[46:47], -v[44:45]
	v_add_f64_e64 v[44:45], v[40:41], -v[80:81]
	v_add_f64_e64 v[46:47], v[42:43], -v[82:83]
	s_delay_alu instid0(VALU_DEP_4)
	v_fma_f64 v[54:55], v[10:11], 2.0, -v[202:203]
	v_add_f64_e64 v[10:11], v[6:7], -v[56:57]
	v_add_f64_e64 v[200:201], v[8:9], -v[62:63]
	v_fma_f64 v[40:41], v[40:41], 2.0, -v[44:45]
	v_fma_f64 v[42:43], v[42:43], 2.0, -v[46:47]
	s_wait_loadcnt 0x0
	ds_store_b128 v48, v[44:47] offset:32
	ds_store_b128 v48, v[40:43]
	scratch_load_b32 v44, off, off offset:880 th:TH_LOAD_LU ; 4-byte Folded Reload
	v_add_f64_e64 v[40:41], v[36:37], -v[84:85]
	v_add_f64_e64 v[42:43], v[38:39], -v[76:77]
	;; [unrolled: 1-line block ×3, first 2 shown]
	v_fma_f64 v[52:53], v[8:9], 2.0, -v[200:201]
	v_add_f64_e64 v[8:9], v[4:5], -v[92:93]
	v_fma_f64 v[6:7], v[6:7], 2.0, -v[10:11]
	v_fma_f64 v[36:37], v[36:37], 2.0, -v[40:41]
	;; [unrolled: 1-line block ×4, first 2 shown]
	v_add_f64_e64 v[18:19], v[14:15], -v[94:95]
	v_fma_f64 v[4:5], v[4:5], 2.0, -v[8:9]
	s_wait_loadcnt 0x0
	ds_store_b128 v44, v[36:39]
	ds_store_b128 v44, v[40:43] offset:32
	scratch_load_b32 v40, off, off offset:876 th:TH_LOAD_LU ; 4-byte Folded Reload
	v_add_f64_e64 v[36:37], v[32:33], -v[78:79]
	v_add_f64_e64 v[38:39], v[34:35], -v[86:87]
	;; [unrolled: 1-line block ×3, first 2 shown]
	v_fma_f64 v[14:15], v[14:15], 2.0, -v[18:19]
	s_delay_alu instid0(VALU_DEP_4) | instskip(NEXT) | instid1(VALU_DEP_4)
	v_fma_f64 v[32:33], v[32:33], 2.0, -v[36:37]
	v_fma_f64 v[34:35], v[34:35], 2.0, -v[38:39]
	s_delay_alu instid0(VALU_DEP_4)
	v_fma_f64 v[48:49], v[16:17], 2.0, -v[44:45]
	v_add_f64_e64 v[16:17], v[12:13], -v[58:59]
	s_wait_loadcnt 0x0
	ds_store_b128 v40, v[32:35]
	ds_store_b128 v40, v[36:39] offset:32
	scratch_load_b32 v56, off, off offset:872 th:TH_LOAD_LU ; 4-byte Folded Reload
	v_add_f64_e64 v[32:33], v[28:29], -v[88:89]
	v_add_f64_e64 v[34:35], v[30:31], -v[68:69]
	;; [unrolled: 1-line block ×4, first 2 shown]
	v_fma_f64 v[12:13], v[12:13], 2.0, -v[16:17]
	v_fma_f64 v[28:29], v[28:29], 2.0, -v[32:33]
	;; [unrolled: 1-line block ×5, first 2 shown]
	v_add_f64_e64 v[20:21], v[24:25], -v[96:97]
	v_add_f64_e64 v[22:23], v[26:27], -v[98:99]
	s_wait_loadcnt 0x0
	ds_store_b128 v56, v[28:31]
	ds_store_b128 v56, v[32:35] offset:32
	scratch_load_b32 v28, off, off offset:868 th:TH_LOAD_LU ; 4-byte Folded Reload
	v_fma_f64 v[24:25], v[24:25], 2.0, -v[20:21]
	v_fma_f64 v[26:27], v[26:27], 2.0, -v[22:23]
	s_wait_loadcnt 0x0
	ds_store_b128 v28, v[40:43]
	ds_store_b128 v28, v[36:39] offset:32
	scratch_load_b32 v28, off, off offset:864 th:TH_LOAD_LU ; 4-byte Folded Reload
	s_wait_loadcnt 0x0
	ds_store_b128 v28, v[48:51]
	ds_store_b128 v28, v[44:47] offset:32
	scratch_load_b32 v28, off, off offset:860 th:TH_LOAD_LU ; 4-byte Folded Reload
	;; [unrolled: 4-line block ×5, first 2 shown]
	s_wait_loadcnt 0x0
	ds_store_b128 v28, v[12:15]
	ds_store_b128 v28, v[16:19] offset:32
	s_and_saveexec_b32 s1, vcc_lo
	s_cbranch_execz .LBB0_25
; %bb.24:
	s_clause 0x1
	scratch_load_b32 v28, off, off offset:1080 th:TH_LOAD_LU
	scratch_load_b32 v29, off, off offset:728 th:TH_LOAD_LU
	s_wait_loadcnt 0x0
	v_and_or_b32 v28, 0x47c, v29, v28
	s_delay_alu instid0(VALU_DEP_1)
	v_lshlrev_b32_e32 v28, 4, v28
	ds_store_b128 v28, v[24:27]
	ds_store_b128 v28, v[20:23] offset:32
.LBB0_25:
	s_wait_alu 0xfffe
	s_or_b32 exec_lo, exec_lo, s1
	global_wb scope:SCOPE_SE
	s_wait_dscnt 0x0
	s_barrier_signal -1
	s_barrier_wait -1
	global_inv scope:SCOPE_SE
	ds_load_b128 v[28:31], v182
	ds_load_b128 v[76:79], v182 offset:1344
	ds_load_b128 v[68:71], v182 offset:2688
	;; [unrolled: 1-line block ×12, first 2 shown]
	s_and_saveexec_b32 s1, s0
	s_cbranch_execz .LBB0_27
; %bb.26:
	ds_load_b128 v[200:203], v182 offset:832
	ds_load_b128 v[0:3], v182 offset:2176
	;; [unrolled: 1-line block ×10, first 2 shown]
	s_wait_dscnt 0x0
	scratch_store_b128 off, v[80:83], off offset:140 ; 16-byte Folded Spill
	ds_load_b128 v[80:83], v182 offset:14272
	s_wait_dscnt 0x0
	scratch_store_b128 off, v[80:83], off offset:124 ; 16-byte Folded Spill
	ds_load_b128 v[80:83], v182 offset:15616
	;; [unrolled: 3-line block ×3, first 2 shown]
	s_wait_dscnt 0x0
	scratch_store_b128 off, v[80:83], off offset:108 ; 16-byte Folded Spill
.LBB0_27:
	s_wait_alu 0xfffe
	s_or_b32 exec_lo, exec_lo, s1
	scratch_load_b128 v[114:117], off, off offset:156 ; 16-byte Folded Reload
	s_wait_dscnt 0xb
	v_mul_f64_e32 v[82:83], v[108:109], v[76:77]
	s_wait_dscnt 0x0
	v_mul_f64_e32 v[84:85], v[112:113], v[72:73]
	v_mul_f64_e32 v[80:81], v[108:109], v[78:79]
	;; [unrolled: 1-line block ×12, first 2 shown]
	s_mov_b32 s10, 0x66966769
	s_mov_b32 s11, 0xbfefc445
	v_mul_f64_e32 v[96:97], v[134:135], v[54:55]
	v_mul_f64_e32 v[148:149], v[146:147], v[42:43]
	;; [unrolled: 1-line block ×8, first 2 shown]
	s_mov_b32 s44, 0x4267c47c
	s_mov_b32 s12, 0x42a4c3d2
	;; [unrolled: 1-line block ×15, first 2 shown]
	v_fma_f64 v[78:79], v[106:107], v[78:79], -v[82:83]
	v_fma_f64 v[100:101], v[110:111], v[74:75], -v[84:85]
	v_fma_f64 v[76:77], v[106:107], v[76:77], v[80:81]
	s_mov_b32 s31, 0xbfcea1e5
	v_mul_f64_e32 v[158:159], v[216:217], v[36:37]
	s_clause 0x1
	scratch_store_b128 off, v[102:105], off offset:760
	scratch_store_b128 off, v[110:113], off offset:776
	s_mov_b32 s22, 0xe00740e9
	v_fma_f64 v[74:75], v[102:103], v[64:65], v[160:161]
	v_fma_f64 v[50:51], v[136:137], v[50:51], -v[170:171]
	v_fma_f64 v[82:83], v[118:119], v[62:63], -v[94:95]
	v_fma_f64 v[46:47], v[140:141], v[46:47], -v[130:131]
	v_fma_f64 v[62:63], v[122:123], v[56:57], v[164:165]
	s_mov_b32 s2, 0x1ea71119
	s_mov_b32 s26, 0x93053d00
	;; [unrolled: 1-line block ×3, first 2 shown]
	v_fma_f64 v[40:41], v[144:145], v[40:41], v[148:149]
	v_fma_f64 v[42:43], v[144:145], v[42:43], -v[150:151]
	v_fma_f64 v[36:37], v[214:215], v[36:37], v[154:155]
	v_fma_f64 v[32:33], v[176:177], v[32:33], v[162:163]
	v_fma_f64 v[34:35], v[176:177], v[34:35], -v[166:167]
	v_fma_f64 v[48:49], v[136:137], v[48:49], v[168:169]
	s_mov_b32 s25, 0x3fddbe06
	s_mov_b32 s3, 0x3fe22d96
	;; [unrolled: 1-line block ×7, first 2 shown]
	s_wait_alu 0xfffe
	s_mov_b32 s24, s44
	s_mov_b32 s34, s12
	;; [unrolled: 1-line block ×6, first 2 shown]
	s_clause 0x2
	scratch_store_b128 off, v[106:109], off offset:792
	scratch_store_b128 off, v[118:121], off offset:808
	;; [unrolled: 1-line block ×3, first 2 shown]
	v_fma_f64 v[44:45], v[140:141], v[44:45], v[128:129]
	v_fma_f64 v[38:39], v[214:215], v[38:39], -v[158:159]
	s_wait_loadcnt 0x0
	v_mul_f64_e32 v[86:87], v[116:117], v[68:69]
	v_mul_f64_e32 v[90:91], v[116:117], v[70:71]
	v_fma_f64 v[116:117], v[102:103], v[66:67], -v[88:89]
	v_fma_f64 v[66:67], v[122:123], v[58:59], -v[152:153]
	v_fma_f64 v[58:59], v[110:111], v[72:73], v[156:157]
	v_fma_f64 v[72:73], v[132:133], v[54:55], -v[98:99]
	v_add_f64_e32 v[88:89], v[28:29], v[76:77]
	scratch_store_b64 off, v[100:101], off offset:728 ; 8-byte Folded Spill
	v_fma_f64 v[80:81], v[114:115], v[70:71], -v[86:87]
	v_fma_f64 v[86:87], v[118:119], v[60:61], v[92:93]
	v_add_f64_e64 v[92:93], v[78:79], -v[100:101]
	v_fma_f64 v[84:85], v[114:115], v[68:69], v[90:91]
	scratch_store_b64 off, v[58:59], off offset:736 ; 8-byte Folded Spill
	v_add_f64_e32 v[90:91], v[30:31], v[78:79]
	v_add_f64_e32 v[78:79], v[78:79], v[100:101]
	;; [unrolled: 1-line block ×3, first 2 shown]
	v_fma_f64 v[70:71], v[132:133], v[52:53], v[96:97]
	v_add_f64_e64 v[76:77], v[76:77], -v[58:59]
	v_add_f64_e32 v[152:153], v[72:73], v[50:51]
	v_add_f64_e64 v[154:155], v[72:73], -v[50:51]
	v_add_f64_e64 v[98:99], v[82:83], -v[66:67]
	v_dual_mov_b32 v58, v140 :: v_dual_mov_b32 v59, v141
	v_add_f64_e32 v[128:129], v[82:83], v[66:67]
	v_dual_mov_b32 v60, v142 :: v_dual_mov_b32 v61, v143
	v_add_f64_e64 v[94:95], v[80:81], -v[116:117]
	v_add_f64_e32 v[64:65], v[86:87], v[62:63]
	v_mul_f64_e32 v[160:161], s[10:11], v[92:93]
	v_add_f64_e32 v[148:149], v[84:85], v[74:75]
	v_add_f64_e64 v[150:151], v[84:85], -v[74:75]
	v_add_f64_e32 v[84:85], v[88:89], v[84:85]
	v_mul_f64_e32 v[88:89], s[44:45], v[92:93]
	v_mul_f64_e32 v[156:157], s[12:13], v[92:93]
	;; [unrolled: 1-line block ×8, first 2 shown]
	v_add_f64_e64 v[68:69], v[86:87], -v[62:63]
	v_add_f64_e64 v[56:57], v[70:71], -v[48:49]
	v_mul_f64_e32 v[226:227], s[18:19], v[154:155]
	v_mul_f64_e32 v[228:229], s[16:17], v[152:153]
	s_wait_alu 0xfffe
	v_mul_f64_e32 v[230:231], s[40:41], v[154:155]
	v_mul_f64_e32 v[234:235], s[24:25], v[154:155]
	;; [unrolled: 1-line block ×6, first 2 shown]
	v_add_f64_e32 v[54:55], v[70:71], v[48:49]
	v_add_f64_e32 v[96:97], v[80:81], v[116:117]
	v_add_f64_e32 v[80:81], v[90:91], v[80:81]
	v_mul_f64_e32 v[158:159], s[2:3], v[78:79]
	v_mul_f64_e32 v[90:91], s[22:23], v[78:79]
	;; [unrolled: 1-line block ×13, first 2 shown]
	v_fma_f64 v[102:103], v[130:131], s[20:21], -v[160:161]
	v_fma_f64 v[250:251], v[130:131], s[20:21], v[160:161]
	v_mul_f64_e32 v[196:197], s[18:19], v[94:95]
	v_add_f64_e32 v[84:85], v[84:85], v[86:87]
	v_fma_f64 v[86:87], v[130:131], s[22:23], v[88:89]
	v_fma_f64 v[88:89], v[130:131], s[22:23], -v[88:89]
	v_fma_f64 v[154:155], v[130:131], s[2:3], v[156:157]
	v_fma_f64 v[156:157], v[130:131], s[2:3], -v[156:157]
	v_fma_f64 v[100:101], v[76:77], s[38:39], v[162:163]
	v_fma_f64 v[160:161], v[76:77], s[10:11], v[162:163]
	;; [unrolled: 1-line block ×4, first 2 shown]
	v_fma_f64 v[106:107], v[130:131], s[16:17], -v[164:165]
	v_fma_f64 v[164:165], v[76:77], s[18:19], v[166:167]
	v_fma_f64 v[166:167], v[130:131], s[28:29], v[168:169]
	v_fma_f64 v[108:109], v[76:77], s[40:41], v[170:171]
	v_fma_f64 v[110:111], v[130:131], s[28:29], -v[168:169]
	v_fma_f64 v[168:169], v[76:77], s[14:15], v[170:171]
	v_fma_f64 v[170:171], v[130:131], s[26:27], v[92:93]
	v_fma_f64 v[92:93], v[130:131], s[26:27], -v[92:93]
	v_mul_f64_e32 v[178:179], s[40:41], v[94:95]
	v_fma_f64 v[142:143], v[64:65], s[16:17], -v[214:215]
	v_fma_f64 v[52:53], v[54:55], s[22:23], -v[234:235]
	v_mul_f64_e32 v[174:175], s[2:3], v[96:97]
	v_add_f64_e32 v[80:81], v[80:81], v[82:83]
	v_mul_f64_e32 v[198:199], s[16:17], v[96:97]
	v_fma_f64 v[248:249], v[76:77], s[34:35], v[158:159]
	v_fma_f64 v[158:159], v[76:77], s[12:13], v[158:159]
	v_mul_f64_e32 v[176:177], s[26:27], v[96:97]
	v_mul_f64_e32 v[184:185], s[28:29], v[96:97]
	;; [unrolled: 1-line block ×7, first 2 shown]
	v_fma_f64 v[152:153], v[76:77], s[24:25], v[90:91]
	v_fma_f64 v[122:123], v[148:149], s[26:27], -v[180:181]
	v_fma_f64 v[90:91], v[76:77], s[44:45], v[90:91]
	v_add_f64_e32 v[102:103], v[28:29], v[102:103]
	v_add_f64_e32 v[250:251], v[28:29], v[250:251]
	v_fma_f64 v[112:113], v[76:77], s[42:43], v[78:79]
	v_fma_f64 v[76:77], v[76:77], s[30:31], v[78:79]
	v_add_f64_e32 v[86:87], v[28:29], v[86:87]
	v_add_f64_e32 v[88:89], v[28:29], v[88:89]
	;; [unrolled: 1-line block ×5, first 2 shown]
	v_fma_f64 v[78:79], v[148:149], s[2:3], v[172:173]
	v_add_f64_e32 v[162:163], v[28:29], v[162:163]
	v_fma_f64 v[130:131], v[148:149], s[2:3], -v[172:173]
	v_add_f64_e32 v[106:107], v[28:29], v[106:107]
	v_fma_f64 v[118:119], v[148:149], s[16:17], -v[196:197]
	v_add_f64_e32 v[166:167], v[28:29], v[166:167]
	v_mul_f64_e32 v[216:217], s[16:17], v[128:129]
	v_add_f64_e32 v[110:111], v[28:29], v[110:111]
	v_mul_f64_e32 v[218:219], s[24:25], v[98:99]
	v_add_f64_e32 v[170:171], v[28:29], v[170:171]
	v_add_f64_e32 v[92:93], v[28:29], v[92:93]
	v_fma_f64 v[28:29], v[56:57], s[18:19], v[228:229]
	scratch_store_b64 off, v[116:117], off offset:744 ; 8-byte Folded Spill
	v_mul_f64_e32 v[220:221], s[22:23], v[128:129]
	v_fma_f64 v[114:115], v[150:151], s[34:35], v[174:175]
	v_add_f64_e32 v[72:73], v[80:81], v[72:73]
	v_fma_f64 v[172:173], v[150:151], s[12:13], v[174:175]
	v_fma_f64 v[174:175], v[148:149], s[16:17], v[196:197]
	;; [unrolled: 1-line block ×5, first 2 shown]
	v_add_f64_e32 v[248:249], v[30:31], v[248:249]
	v_add_f64_e32 v[158:159], v[30:31], v[158:159]
	v_mul_f64_e32 v[222:223], s[12:13], v[98:99]
	v_mul_f64_e32 v[224:225], s[2:3], v[128:129]
	;; [unrolled: 1-line block ×4, first 2 shown]
	v_fma_f64 v[120:121], v[150:151], s[42:43], v[176:177]
	v_fma_f64 v[80:81], v[150:151], s[30:31], v[176:177]
	v_add_f64_e32 v[102:103], v[122:123], v[102:103]
	v_fma_f64 v[84:85], v[148:149], s[28:29], v[178:179]
	v_fma_f64 v[176:177], v[150:151], s[14:15], v[184:185]
	;; [unrolled: 1-line block ×5, first 2 shown]
	v_fma_f64 v[126:127], v[148:149], s[20:21], -v[186:187]
	v_fma_f64 v[186:187], v[150:151], s[38:39], v[204:205]
	v_fma_f64 v[204:205], v[148:149], s[22:23], v[94:95]
	;; [unrolled: 1-line block ×3, first 2 shown]
	v_fma_f64 v[94:95], v[148:149], s[22:23], -v[94:95]
	v_fma_f64 v[96:97], v[150:151], s[24:25], v[96:97]
	v_add_f64_e32 v[150:151], v[30:31], v[152:153]
	v_add_f64_e32 v[90:91], v[30:31], v[90:91]
	;; [unrolled: 1-line block ×8, first 2 shown]
	scratch_store_b64 off, v[28:29], off offset:752 ; 8-byte Folded Spill
	v_add_f64_e32 v[76:77], v[30:31], v[76:77]
	v_fma_f64 v[178:179], v[148:149], s[28:29], -v[178:179]
	v_fma_f64 v[134:135], v[64:65], s[20:21], v[206:207]
	v_add_f64_e32 v[72:73], v[72:73], v[46:47]
	v_fma_f64 v[148:149], v[68:69], s[38:39], v[208:209]
	v_fma_f64 v[206:207], v[64:65], s[20:21], -v[206:207]
	v_fma_f64 v[208:209], v[68:69], s[10:11], v[208:209]
	v_fma_f64 v[152:153], v[64:65], s[26:27], v[210:211]
	v_add_f64_e32 v[250:251], v[198:199], v[250:251]
	v_add_f64_e32 v[248:249], v[116:117], v[248:249]
	;; [unrolled: 1-line block ×4, first 2 shown]
	v_dual_mov_b32 v199, v147 :: v_dual_mov_b32 v198, v146
	v_fma_f64 v[136:137], v[68:69], s[42:43], v[212:213]
	v_fma_f64 v[138:139], v[64:65], s[26:27], -v[210:211]
	v_fma_f64 v[210:211], v[68:69], s[30:31], v[212:213]
	v_add_f64_e32 v[102:103], v[142:143], v[102:103]
	v_fma_f64 v[212:213], v[64:65], s[16:17], v[214:215]
	v_add_f64_e32 v[108:109], v[30:31], v[108:109]
	v_add_f64_e32 v[112:113], v[30:31], v[112:113]
	v_fma_f64 v[140:141], v[68:69], s[18:19], v[216:217]
	v_fma_f64 v[214:215], v[68:69], s[36:37], v[216:217]
	;; [unrolled: 1-line block ×3, first 2 shown]
	v_add_f64_e32 v[78:79], v[78:79], v[86:87]
	v_fma_f64 v[86:87], v[68:69], s[44:45], v[220:221]
	v_fma_f64 v[218:219], v[64:65], s[22:23], -v[218:219]
	v_fma_f64 v[220:221], v[68:69], s[24:25], v[220:221]
	v_add_f64_e32 v[88:89], v[130:131], v[88:89]
	v_add_f64_e32 v[114:115], v[114:115], v[150:151]
	v_fma_f64 v[150:151], v[64:65], s[2:3], v[222:223]
	v_fma_f64 v[130:131], v[68:69], s[34:35], v[224:225]
	v_fma_f64 v[222:223], v[64:65], s[2:3], -v[222:223]
	v_fma_f64 v[224:225], v[68:69], s[12:13], v[224:225]
	v_add_f64_e32 v[90:91], v[172:173], v[90:91]
	v_fma_f64 v[172:173], v[64:65], s[28:29], v[98:99]
	v_add_f64_e32 v[154:155], v[174:175], v[154:155]
	v_add_f64_e32 v[100:101], v[120:121], v[100:101]
	;; [unrolled: 1-line block ×7, first 2 shown]
	v_fma_f64 v[176:177], v[68:69], s[40:41], v[128:129]
	v_fma_f64 v[98:99], v[64:65], s[28:29], -v[98:99]
	v_dual_mov_b32 v197, v145 :: v_dual_mov_b32 v196, v144
	v_fma_f64 v[144:145], v[68:69], s[14:15], v[128:129]
	v_fma_f64 v[174:175], v[54:55], s[16:17], v[226:227]
	;; [unrolled: 1-line block ×3, first 2 shown]
	v_fma_f64 v[68:69], v[54:55], s[16:17], -v[226:227]
	v_fma_f64 v[228:229], v[56:57], s[14:15], v[232:233]
	v_fma_f64 v[128:129], v[56:57], s[40:41], v[232:233]
	;; [unrolled: 1-line block ×4, first 2 shown]
	v_add_f64_e32 v[102:103], v[52:53], v[102:103]
	scratch_load_b64 v[52:53], off, off offset:752 th:TH_LOAD_LU ; 8-byte Folded Reload
	v_fma_f64 v[234:235], v[56:57], s[24:25], v[236:237]
	v_fma_f64 v[64:65], v[54:55], s[20:21], v[238:239]
	;; [unrolled: 1-line block ×3, first 2 shown]
	v_fma_f64 v[158:159], v[54:55], s[20:21], -v[238:239]
	v_fma_f64 v[240:241], v[56:57], s[10:11], v[240:241]
	v_fma_f64 v[162:163], v[54:55], s[26:27], v[242:243]
	;; [unrolled: 1-line block ×3, first 2 shown]
	v_fma_f64 v[226:227], v[54:55], s[26:27], -v[242:243]
	v_fma_f64 v[238:239], v[56:57], s[42:43], v[244:245]
	v_fma_f64 v[242:243], v[56:57], s[12:13], v[82:83]
	;; [unrolled: 1-line block ×3, first 2 shown]
	v_add_f64_e64 v[82:83], v[46:47], -v[34:35]
	v_add_f64_e32 v[46:47], v[46:47], v[34:35]
	v_add_f64_e32 v[146:147], v[180:181], v[164:165]
	;; [unrolled: 1-line block ×6, first 2 shown]
	v_fma_f64 v[72:73], v[54:55], s[28:29], v[230:231]
	v_fma_f64 v[230:231], v[54:55], s[28:29], -v[230:231]
	v_fma_f64 v[244:245], v[54:55], s[2:3], v[246:247]
	v_fma_f64 v[54:55], v[54:55], s[2:3], -v[246:247]
	v_add_f64_e32 v[106:107], v[178:179], v[106:107]
	v_add_f64_e32 v[28:29], v[40:41], v[36:37]
	v_add_f64_e64 v[30:31], v[40:41], -v[36:37]
	v_add_f64_e32 v[36:37], v[122:123], v[36:37]
	v_add_f64_e64 v[40:41], v[42:43], -v[38:39]
	v_add_f64_e32 v[42:43], v[42:43], v[38:39]
	v_add_f64_e32 v[38:39], v[160:161], v[38:39]
	;; [unrolled: 1-line block ×3, first 2 shown]
	v_add_f64_e64 v[44:45], v[44:45], -v[32:33]
	v_add_f64_e32 v[164:165], v[184:185], v[166:167]
	v_add_f64_e32 v[108:109], v[124:125], v[108:109]
	;; [unrolled: 1-line block ×16, first 2 shown]
	v_mul_f64_e32 v[160:161], s[14:15], v[82:83]
	v_mul_f64_e32 v[166:167], s[28:29], v[46:47]
	;; [unrolled: 1-line block ×12, first 2 shown]
	v_add_f64_e32 v[146:147], v[220:221], v[146:147]
	v_add_f64_e32 v[110:111], v[222:223], v[110:111]
	;; [unrolled: 1-line block ×5, first 2 shown]
	v_mul_f64_e32 v[148:149], s[30:31], v[40:41]
	v_mul_f64_e32 v[210:211], s[28:29], v[42:43]
	v_add_f64_e32 v[32:33], v[36:37], v[32:33]
	v_mul_f64_e32 v[142:143], s[16:17], v[42:43]
	v_add_f64_e32 v[106:107], v[218:219], v[106:107]
	v_add_f64_e32 v[150:151], v[150:151], v[164:165]
	;; [unrolled: 1-line block ×12, first 2 shown]
	v_mul_f64_e32 v[154:155], s[26:27], v[42:43]
	v_mul_f64_e32 v[184:185], s[24:25], v[40:41]
	;; [unrolled: 1-line block ×5, first 2 shown]
	v_fma_f64 v[214:215], v[122:123], s[28:29], v[160:161]
	v_fma_f64 v[216:217], v[44:45], s[40:41], v[166:167]
	;; [unrolled: 1-line block ×5, first 2 shown]
	v_fma_f64 v[124:125], v[122:123], s[20:21], -v[124:125]
	v_fma_f64 v[126:127], v[44:45], s[38:39], v[126:127]
	v_fma_f64 v[164:165], v[44:45], s[34:35], v[180:181]
	;; [unrolled: 1-line block ×7, first 2 shown]
	v_fma_f64 v[96:97], v[122:123], s[22:23], -v[96:97]
	v_fma_f64 v[134:135], v[44:45], s[24:25], v[134:135]
	v_fma_f64 v[144:145], v[122:123], s[16:17], v[82:83]
	;; [unrolled: 1-line block ×3, first 2 shown]
	v_fma_f64 v[82:83], v[122:123], s[16:17], -v[82:83]
	v_fma_f64 v[44:45], v[44:45], s[18:19], v[46:47]
	v_add_f64_e32 v[46:47], v[208:209], v[90:91]
	v_add_f64_e32 v[128:129], v[240:241], v[146:147]
	v_add_f64_e32 v[110:111], v[226:227], v[110:111]
	v_add_f64_e32 v[146:147], v[238:239], v[168:169]
	v_add_f64_e32 v[54:55], v[54:55], v[92:93]
	v_add_f64_e32 v[76:77], v[56:57], v[76:77]
	v_add_f64_e32 v[34:35], v[38:39], v[34:35]
	v_mul_f64_e32 v[38:39], s[2:3], v[42:43]
	v_mul_f64_e32 v[140:141], s[18:19], v[40:41]
	;; [unrolled: 1-line block ×4, first 2 shown]
	v_fma_f64 v[220:221], v[122:123], s[2:3], v[178:179]
	v_add_f64_e32 v[48:49], v[32:33], v[48:49]
	v_fma_f64 v[90:91], v[28:29], s[26:27], v[148:149]
	v_add_f64_e32 v[120:121], v[120:121], v[204:205]
	v_add_f64_e32 v[108:109], v[236:237], v[108:109]
	;; [unrolled: 1-line block ×4, first 2 shown]
	v_fma_f64 v[36:37], v[28:29], s[22:23], v[184:185]
	v_add_f64_e32 v[78:79], v[214:215], v[78:79]
	v_fma_f64 v[32:33], v[28:29], s[22:23], -v[184:185]
	v_add_f64_e32 v[84:85], v[64:65], v[84:85]
	v_add_f64_e32 v[72:73], v[104:105], v[72:73]
	;; [unrolled: 1-line block ×4, first 2 shown]
	v_fma_f64 v[124:125], v[30:31], s[18:19], v[142:143]
	v_add_f64_e32 v[86:87], v[156:157], v[86:87]
	v_add_f64_e32 v[106:107], v[158:159], v[106:107]
	;; [unrolled: 1-line block ×4, first 2 shown]
	v_fma_f64 v[92:93], v[30:31], s[24:25], v[138:139]
	v_fma_f64 v[156:157], v[28:29], s[28:29], -v[186:187]
	v_fma_f64 v[158:159], v[28:29], s[2:3], v[212:213]
	v_fma_f64 v[168:169], v[28:29], s[2:3], -v[212:213]
	v_add_f64_e32 v[116:117], v[126:127], v[118:119]
	v_add_f64_e32 v[100:101], v[232:233], v[100:101]
	v_fma_f64 v[130:131], v[122:123], s[26:27], v[132:133]
	v_fma_f64 v[132:133], v[122:123], s[26:27], -v[132:133]
	v_fma_f64 v[178:179], v[122:123], s[2:3], -v[178:179]
	;; [unrolled: 1-line block ×3, first 2 shown]
	v_add_f64_e32 v[96:97], v[96:97], v[110:111]
	v_add_f64_e32 v[68:69], v[134:135], v[146:147]
	;; [unrolled: 1-line block ×4, first 2 shown]
	scratch_load_b64 v[44:45], off, off offset:744 th:TH_LOAD_LU ; 8-byte Folded Reload
	v_fma_f64 v[54:55], v[30:31], s[14:15], v[210:211]
	v_add_f64_e32 v[50:51], v[34:35], v[50:51]
	v_fma_f64 v[34:35], v[30:31], s[44:45], v[138:139]
	v_fma_f64 v[138:139], v[28:29], s[28:29], v[186:187]
	;; [unrolled: 1-line block ×3, first 2 shown]
	v_add_f64_e32 v[48:49], v[48:49], v[62:63]
	v_fma_f64 v[140:141], v[28:29], s[16:17], -v[140:141]
	v_fma_f64 v[64:65], v[28:29], s[20:21], v[40:41]
	v_fma_f64 v[62:63], v[30:31], s[10:11], v[42:43]
	v_add_f64_e32 v[118:119], v[220:221], v[120:121]
	v_add_f64_e32 v[98:99], v[98:99], v[108:109]
	;; [unrolled: 1-line block ×3, first 2 shown]
	v_fma_f64 v[112:113], v[28:29], s[20:21], -v[40:41]
	v_fma_f64 v[120:121], v[30:31], s[38:39], v[42:43]
	v_fma_f64 v[42:43], v[28:29], s[26:27], -v[148:149]
	v_add_f64_e32 v[28:29], v[90:91], v[78:79]
	v_fma_f64 v[122:123], v[30:31], s[42:43], v[154:155]
	v_fma_f64 v[152:153], v[30:31], s[40:41], v[210:211]
	v_add_f64_e32 v[70:71], v[216:217], v[70:71]
	v_fma_f64 v[162:163], v[30:31], s[12:13], v[38:39]
	v_fma_f64 v[174:175], v[30:31], s[36:37], v[142:143]
	v_add_f64_e32 v[56:57], v[94:95], v[128:129]
	v_add_f64_e32 v[94:95], v[224:225], v[136:137]
	v_fma_f64 v[126:127], v[30:31], s[34:35], v[38:39]
	v_add_f64_e32 v[36:37], v[36:37], v[72:73]
	v_add_f64_e32 v[32:33], v[32:33], v[114:115]
	;; [unrolled: 1-line block ×14, first 2 shown]
	s_wait_loadcnt 0x1
	v_add_f64_e32 v[46:47], v[52:53], v[46:47]
	v_add_f64_e32 v[52:53], v[180:181], v[80:81]
	v_add_f64_e32 v[80:81], v[130:131], v[84:85]
	v_add_f64_e32 v[84:85], v[222:223], v[86:87]
	v_add_f64_e32 v[86:87], v[132:133], v[106:107]
	v_add_f64_e32 v[106:107], v[144:145], v[150:151]
	v_add_f64_e32 v[46:47], v[166:167], v[46:47]
	v_add_f64_e32 v[68:69], v[54:55], v[52:53]
	scratch_load_b64 v[52:53], off, off offset:736 th:TH_LOAD_LU ; 8-byte Folded Reload
	v_add_f64_e32 v[76:77], v[158:159], v[80:81]
	v_add_f64_e32 v[78:79], v[162:163], v[84:85]
	;; [unrolled: 1-line block ×10, first 2 shown]
	s_wait_loadcnt 0x0
	v_add_f64_e32 v[48:49], v[48:49], v[52:53]
	scratch_load_b64 v[52:53], off, off offset:728 th:TH_LOAD_LU ; 8-byte Folded Reload
	v_add_f64_e32 v[50:51], v[50:51], v[44:45]
	v_fma_f64 v[44:45], v[30:31], s[30:31], v[154:155]
	v_add_f64_e32 v[30:31], v[122:123], v[70:71]
	v_add_f64_e32 v[70:71], v[138:139], v[118:119]
	global_wb scope:SCOPE_SE
	s_wait_loadcnt 0x0
	s_wait_storecnt 0x0
	s_barrier_signal -1
	s_barrier_wait -1
	global_inv scope:SCOPE_SE
	v_add_f64_e32 v[42:43], v[44:45], v[46:47]
	v_add_f64_e32 v[50:51], v[50:51], v[52:53]
	ds_store_b128 v183, v[36:39] offset:128
	ds_store_b128 v183, v[70:73] offset:192
	ds_store_b128 v183, v[76:79] offset:256
	ds_store_b128 v183, v[84:87] offset:320
	ds_store_b128 v183, v[92:95] offset:384
	ds_store_b128 v183, v[62:65] offset:448
	ds_store_b128 v183, v[88:91] offset:512
	ds_store_b128 v183, v[80:83] offset:576
	ds_store_b128 v183, v[66:69] offset:640
	ds_store_b128 v183, v[32:35] offset:704
	ds_store_b128 v183, v[48:51]
	ds_store_b128 v183, v[28:31] offset:64
	ds_store_b128 v183, v[40:43] offset:768
	s_and_saveexec_b32 s1, s0
	s_cbranch_execz .LBB0_29
; %bb.28:
	scratch_load_b128 v[32:35], off, off offset:76 th:TH_LOAD_LU ; 16-byte Folded Reload
	v_mul_f64_e32 v[28:29], v[198:199], v[18:19]
	s_delay_alu instid0(VALU_DEP_1) | instskip(SKIP_1) | instid1(VALU_DEP_1)
	v_fma_f64 v[28:29], v[196:197], v[16:17], v[28:29]
	v_mul_f64_e32 v[16:17], v[198:199], v[16:17]
	v_fma_f64 v[30:31], v[196:197], v[18:19], -v[16:17]
	s_wait_loadcnt 0x0
	v_mul_f64_e32 v[16:17], v[34:35], v[26:27]
	v_mul_f64_e32 v[18:19], v[34:35], v[24:25]
	s_delay_alu instid0(VALU_DEP_2) | instskip(NEXT) | instid1(VALU_DEP_2)
	v_fma_f64 v[16:17], v[32:33], v[24:25], v[16:17]
	v_fma_f64 v[18:19], v[32:33], v[26:27], -v[18:19]
	scratch_load_b128 v[32:35], off, off offset:60 th:TH_LOAD_LU ; 16-byte Folded Reload
	v_mul_f64_e32 v[24:25], v[60:61], v[14:15]
	v_add_f64_e64 v[148:149], v[28:29], -v[16:17]
	v_add_f64_e64 v[152:153], v[30:31], -v[18:19]
	v_add_f64_e32 v[150:151], v[30:31], v[18:19]
	s_delay_alu instid0(VALU_DEP_4)
	v_fma_f64 v[24:25], v[58:59], v[12:13], v[24:25]
	v_mul_f64_e32 v[12:13], v[60:61], v[12:13]
	v_add_f64_e32 v[154:155], v[28:29], v[16:17]
	v_mul_f64_e32 v[158:159], s[34:35], v[148:149]
	v_mul_f64_e32 v[156:157], s[38:39], v[152:153]
	v_mul_f64_e32 v[160:161], s[34:35], v[152:153]
	v_mul_f64_e32 v[178:179], s[24:25], v[148:149]
	v_fma_f64 v[26:27], v[58:59], v[14:15], -v[12:13]
	v_mul_f64_e32 v[180:181], s[24:25], v[152:153]
	v_mul_f64_e32 v[204:205], s[14:15], v[148:149]
	;; [unrolled: 1-line block ×3, first 2 shown]
	s_wait_loadcnt 0x0
	v_mul_f64_e32 v[12:13], v[34:35], v[22:23]
	v_mul_f64_e32 v[14:15], v[34:35], v[20:21]
	s_delay_alu instid0(VALU_DEP_2) | instskip(NEXT) | instid1(VALU_DEP_2)
	v_fma_f64 v[12:13], v[32:33], v[20:21], v[12:13]
	v_fma_f64 v[14:15], v[32:33], v[22:23], -v[14:15]
	scratch_load_b128 v[32:35], off, off offset:792 th:TH_LOAD_LU ; 16-byte Folded Reload
	v_add_f64_e64 v[140:141], v[24:25], -v[12:13]
	v_add_f64_e32 v[142:143], v[26:27], v[14:15]
	v_add_f64_e64 v[144:145], v[26:27], -v[14:15]
	v_add_f64_e32 v[146:147], v[24:25], v[12:13]
	s_delay_alu instid0(VALU_DEP_4) | instskip(NEXT) | instid1(VALU_DEP_3)
	v_mul_f64_e32 v[174:175], s[38:39], v[140:141]
	v_mul_f64_e32 v[176:177], s[38:39], v[144:145]
	s_wait_loadcnt 0x0
	v_mul_f64_e32 v[20:21], v[34:35], v[2:3]
	s_delay_alu instid0(VALU_DEP_1) | instskip(SKIP_1) | instid1(VALU_DEP_1)
	v_fma_f64 v[44:45], v[32:33], v[0:1], v[20:21]
	v_mul_f64_e32 v[0:1], v[34:35], v[0:1]
	v_fma_f64 v[46:47], v[32:33], v[2:3], -v[0:1]
	scratch_load_b128 v[32:35], off, off offset:28 th:TH_LOAD_LU ; 16-byte Folded Reload
	s_wait_loadcnt 0x0
	v_mul_f64_e32 v[0:1], v[34:35], v[10:11]
	s_delay_alu instid0(VALU_DEP_1) | instskip(SKIP_1) | instid1(VALU_DEP_1)
	v_fma_f64 v[20:21], v[32:33], v[8:9], v[0:1]
	v_mul_f64_e32 v[0:1], v[34:35], v[8:9]
	v_fma_f64 v[22:23], v[32:33], v[10:11], -v[0:1]
	s_clause 0x1
	scratch_load_b128 v[32:35], off, off offset:140 th:TH_LOAD_LU
	scratch_load_b128 v[36:39], off, off offset:44 th:TH_LOAD_LU
	s_wait_loadcnt 0x0
	v_mul_f64_e32 v[0:1], v[38:39], v[34:35]
	s_delay_alu instid0(VALU_DEP_1) | instskip(SKIP_1) | instid1(VALU_DEP_2)
	v_fma_f64 v[8:9], v[36:37], v[32:33], v[0:1]
	v_mul_f64_e32 v[0:1], v[38:39], v[32:33]
	v_add_f64_e64 v[132:133], v[20:21], -v[8:9]
	s_delay_alu instid0(VALU_DEP_2)
	v_fma_f64 v[10:11], v[36:37], v[34:35], -v[0:1]
	scratch_load_b128 v[34:37], off, off offset:808 th:TH_LOAD_LU ; 16-byte Folded Reload
	v_add_f64_e32 v[138:139], v[20:21], v[8:9]
	v_mul_f64_e32 v[170:171], s[40:41], v[132:133]
	v_add_f64_e32 v[134:135], v[22:23], v[10:11]
	v_add_f64_e64 v[136:137], v[22:23], -v[10:11]
	s_delay_alu instid0(VALU_DEP_1) | instskip(SKIP_2) | instid1(VALU_DEP_1)
	v_mul_f64_e32 v[172:173], s[40:41], v[136:137]
	s_wait_loadcnt 0x0
	v_mul_f64_e32 v[0:1], v[36:37], v[6:7]
	v_fma_f64 v[32:33], v[34:35], v[4:5], v[0:1]
	v_mul_f64_e32 v[0:1], v[36:37], v[4:5]
	s_clause 0x1
	scratch_load_b128 v[36:39], off, off offset:124 th:TH_LOAD_LU
	scratch_load_b128 v[40:43], off, off offset:824 th:TH_LOAD_LU
	v_fma_f64 v[34:35], v[34:35], v[6:7], -v[0:1]
	s_wait_loadcnt 0x0
	v_mul_f64_e32 v[0:1], v[42:43], v[38:39]
	s_delay_alu instid0(VALU_DEP_1) | instskip(SKIP_1) | instid1(VALU_DEP_2)
	v_fma_f64 v[4:5], v[40:41], v[36:37], v[0:1]
	v_mul_f64_e32 v[0:1], v[42:43], v[36:37]
	v_add_f64_e64 v[126:127], v[32:33], -v[4:5]
	s_delay_alu instid0(VALU_DEP_2) | instskip(SKIP_4) | instid1(VALU_DEP_1)
	v_fma_f64 v[6:7], v[40:41], v[38:39], -v[0:1]
	scratch_load_b128 v[38:41], off, off offset:156 th:TH_LOAD_LU ; 16-byte Folded Reload
	v_add_f64_e32 v[130:131], v[32:33], v[4:5]
	v_mul_f64_e32 v[166:167], s[30:31], v[126:127]
	v_add_f64_e64 v[128:129], v[34:35], -v[6:7]
	v_mul_f64_e32 v[168:169], s[30:31], v[128:129]
	s_wait_loadcnt 0x0
	v_mul_f64_e32 v[0:1], v[40:41], v[254:255]
	s_delay_alu instid0(VALU_DEP_1)
	v_fma_f64 v[36:37], v[38:39], v[252:253], v[0:1]
	v_mul_f64_e32 v[0:1], v[40:41], v[252:253]
	s_clause 0x3
	scratch_load_b128 v[40:43], off, off offset:108 th:TH_LOAD_LU
	scratch_load_b128 v[48:51], off, off offset:776 th:TH_LOAD_LU
	;; [unrolled: 1-line block ×4, first 2 shown]
	v_fma_f64 v[38:39], v[38:39], v[254:255], -v[0:1]
	s_wait_loadcnt 0x2
	v_mul_f64_e32 v[0:1], v[50:51], v[42:43]
	v_mul_f64_e32 v[2:3], v[50:51], v[40:41]
	s_delay_alu instid0(VALU_DEP_2) | instskip(SKIP_2) | instid1(VALU_DEP_3)
	v_fma_f64 v[0:1], v[48:49], v[40:41], v[0:1]
	s_wait_loadcnt 0x0
	v_mul_f64_e32 v[40:41], v[58:59], v[54:55]
	v_fma_f64 v[2:3], v[48:49], v[42:43], -v[2:3]
	v_mul_f64_e32 v[42:43], v[58:59], v[52:53]
	s_delay_alu instid0(VALU_DEP_4) | instskip(NEXT) | instid1(VALU_DEP_4)
	v_add_f64_e64 v[48:49], v[44:45], -v[0:1]
	v_fma_f64 v[40:41], v[56:57], v[52:53], v[40:41]
	s_delay_alu instid0(VALU_DEP_4) | instskip(NEXT) | instid1(VALU_DEP_4)
	v_add_f64_e32 v[50:51], v[46:47], v[2:3]
	v_fma_f64 v[42:43], v[56:57], v[54:55], -v[42:43]
	v_add_f64_e32 v[84:85], v[44:45], v[0:1]
	v_mul_f64_e32 v[52:53], s[30:31], v[48:49]
	v_mul_f64_e32 v[54:55], s[14:15], v[48:49]
	;; [unrolled: 1-line block ×6, first 2 shown]
	v_add_f64_e64 v[122:123], v[36:37], -v[40:41]
	v_add_f64_e64 v[124:125], v[38:39], -v[42:43]
	v_fma_f64 v[62:63], v[50:51], s[26:27], v[52:53]
	v_fma_f64 v[52:53], v[50:51], s[26:27], -v[52:53]
	v_fma_f64 v[66:67], v[50:51], s[16:17], v[56:57]
	v_fma_f64 v[64:65], v[50:51], s[28:29], v[54:55]
	v_fma_f64 v[54:55], v[50:51], s[28:29], -v[54:55]
	v_fma_f64 v[72:73], v[50:51], s[22:23], v[48:49]
	v_fma_f64 v[74:75], v[50:51], s[22:23], -v[48:49]
	v_add_f64_e64 v[48:49], v[46:47], -v[2:3]
	v_fma_f64 v[56:57], v[50:51], s[16:17], -v[56:57]
	v_fma_f64 v[68:69], v[50:51], s[20:21], v[58:59]
	v_fma_f64 v[58:59], v[50:51], s[20:21], -v[58:59]
	v_fma_f64 v[70:71], v[50:51], s[2:3], v[60:61]
	v_fma_f64 v[60:61], v[50:51], s[2:3], -v[60:61]
	v_mul_f64_e32 v[162:163], s[18:19], v[122:123]
	v_mul_f64_e32 v[164:165], s[18:19], v[124:125]
	v_add_f64_e32 v[62:63], v[202:203], v[62:63]
	v_add_f64_e32 v[100:101], v[202:203], v[52:53]
	;; [unrolled: 1-line block ×4, first 2 shown]
	v_mul_f64_e32 v[66:67], s[24:25], v[122:123]
	v_add_f64_e32 v[102:103], v[202:203], v[64:65]
	v_add_f64_e32 v[104:105], v[202:203], v[54:55]
	v_mul_f64_e32 v[50:51], s[30:31], v[48:49]
	v_add_f64_e32 v[108:109], v[202:203], v[56:57]
	v_add_f64_e32 v[112:113], v[202:203], v[68:69]
	;; [unrolled: 1-line block ×4, first 2 shown]
	v_mul_f64_e32 v[68:69], s[24:25], v[124:125]
	v_add_f64_e32 v[118:119], v[202:203], v[70:71]
	v_mul_f64_e32 v[70:71], s[14:15], v[126:127]
	v_mul_f64_e32 v[82:83], s[12:13], v[48:49]
	;; [unrolled: 1-line block ×6, first 2 shown]
	v_fma_f64 v[56:57], v[52:53], s[22:23], v[66:67]
	v_fma_f64 v[66:67], v[52:53], s[22:23], -v[66:67]
	v_fma_f64 v[86:87], v[84:85], s[26:27], -v[50:51]
	v_fma_f64 v[88:89], v[84:85], s[26:27], v[50:51]
	v_add_f64_e32 v[50:51], v[200:201], v[44:45]
	v_add_f64_e32 v[44:45], v[202:203], v[72:73]
	v_fma_f64 v[96:97], v[84:85], s[2:3], -v[82:83]
	v_fma_f64 v[92:93], v[84:85], s[16:17], -v[78:79]
	v_fma_f64 v[78:79], v[84:85], s[16:17], v[78:79]
	v_fma_f64 v[94:95], v[84:85], s[20:21], -v[80:81]
	v_fma_f64 v[80:81], v[84:85], s[20:21], v[80:81]
	;; [unrolled: 2-line block ×3, first 2 shown]
	v_fma_f64 v[82:83], v[84:85], s[2:3], v[82:83]
	v_fma_f64 v[98:99], v[84:85], s[22:23], -v[48:49]
	v_fma_f64 v[84:85], v[84:85], s[22:23], v[48:49]
	v_add_f64_e32 v[48:49], v[202:203], v[46:47]
	v_add_f64_e32 v[62:63], v[56:57], v[62:63]
	v_fma_f64 v[56:57], v[58:59], s[22:23], -v[68:69]
	v_add_f64_e32 v[66:67], v[66:67], v[100:101]
	v_add_f64_e32 v[86:87], v[200:201], v[86:87]
	;; [unrolled: 1-line block ×3, first 2 shown]
	v_fma_f64 v[68:69], v[58:59], s[22:23], v[68:69]
	v_add_f64_e32 v[36:37], v[50:51], v[36:37]
	v_add_f64_e32 v[120:121], v[200:201], v[96:97]
	;; [unrolled: 1-line block ×11, first 2 shown]
	v_mul_f64_e32 v[98:99], s[38:39], v[148:149]
	v_add_f64_e32 v[82:83], v[200:201], v[82:83]
	v_add_f64_e32 v[38:39], v[48:49], v[38:39]
	;; [unrolled: 1-line block ×8, first 2 shown]
	s_delay_alu instid0(VALU_DEP_4) | instskip(SKIP_1) | instid1(VALU_DEP_4)
	v_fma_f64 v[72:73], v[56:57], s[28:29], v[70:71]
	v_fma_f64 v[70:71], v[56:57], s[28:29], -v[70:71]
	v_add_f64_e32 v[20:21], v[32:33], v[20:21]
	v_mul_f64_e32 v[32:33], s[12:13], v[122:123]
	v_add_f64_e32 v[22:23], v[34:35], v[22:23]
	v_add_f64_e32 v[62:63], v[72:73], v[62:63]
	v_mul_f64_e32 v[72:73], s[14:15], v[128:129]
	v_add_f64_e32 v[66:67], v[70:71], v[66:67]
	v_add_f64_e32 v[20:21], v[20:21], v[24:25]
	v_mul_f64_e32 v[24:25], s[12:13], v[124:125]
	v_fma_f64 v[34:35], v[52:53], s[2:3], -v[32:33]
	v_add_f64_e32 v[22:23], v[22:23], v[26:27]
	v_fma_f64 v[74:75], v[130:131], s[28:29], -v[72:73]
	v_fma_f64 v[70:71], v[130:131], s[28:29], v[72:73]
	v_fma_f64 v[72:73], v[154:155], s[20:21], v[156:157]
	v_add_f64_e32 v[20:21], v[20:21], v[28:29]
	v_mul_f64_e32 v[28:29], s[10:11], v[126:127]
	v_fma_f64 v[26:27], v[58:59], s[2:3], v[24:25]
	v_add_f64_e32 v[34:35], v[34:35], v[60:61]
	v_add_f64_e32 v[22:23], v[22:23], v[30:31]
	;; [unrolled: 1-line block ×3, first 2 shown]
	v_mul_f64_e32 v[74:75], s[34:35], v[132:133]
	v_add_f64_e32 v[68:69], v[70:71], v[68:69]
	v_add_f64_e32 v[16:17], v[20:21], v[16:17]
	v_mul_f64_e32 v[20:21], s[10:11], v[128:129]
	v_add_f64_e32 v[26:27], v[26:27], v[54:55]
	v_fma_f64 v[30:31], v[56:57], s[20:21], -v[28:29]
	v_add_f64_e32 v[18:19], v[22:23], v[18:19]
	v_fma_f64 v[78:79], v[134:135], s[2:3], v[74:75]
	v_fma_f64 v[70:71], v[134:135], s[2:3], -v[74:75]
	v_mul_f64_e32 v[74:75], s[38:39], v[122:123]
	v_add_f64_e32 v[12:13], v[16:17], v[12:13]
	v_fma_f64 v[16:17], v[52:53], s[2:3], v[32:33]
	v_fma_f64 v[22:23], v[130:131], s[20:21], v[20:21]
	v_add_f64_e32 v[30:31], v[30:31], v[34:35]
	v_add_f64_e32 v[14:15], v[18:19], v[14:15]
	v_fma_f64 v[18:19], v[58:59], s[2:3], -v[24:25]
	v_mul_f64_e32 v[24:25], s[18:19], v[132:133]
	v_add_f64_e32 v[62:63], v[78:79], v[62:63]
	v_mul_f64_e32 v[78:79], s[34:35], v[136:137]
	v_add_f64_e32 v[66:67], v[70:71], v[66:67]
	v_add_f64_e32 v[8:9], v[12:13], v[8:9]
	v_fma_f64 v[12:13], v[56:57], s[20:21], v[28:29]
	v_add_f64_e32 v[16:17], v[16:17], v[44:45]
	v_add_f64_e32 v[22:23], v[22:23], v[26:27]
	;; [unrolled: 1-line block ×3, first 2 shown]
	v_fma_f64 v[14:15], v[130:131], s[20:21], -v[20:21]
	v_add_f64_e32 v[18:19], v[18:19], v[46:47]
	v_mul_f64_e32 v[20:21], s[18:19], v[136:137]
	v_fma_f64 v[26:27], v[134:135], s[16:17], -v[24:25]
	v_fma_f64 v[80:81], v[138:139], s[2:3], -v[78:79]
	v_fma_f64 v[70:71], v[138:139], s[2:3], v[78:79]
	v_mul_f64_e32 v[78:79], s[38:39], v[124:125]
	v_add_f64_e32 v[4:5], v[8:9], v[4:5]
	v_fma_f64 v[8:9], v[134:135], s[16:17], v[24:25]
	v_add_f64_e32 v[12:13], v[12:13], v[16:17]
	v_mul_f64_e32 v[16:17], s[14:15], v[140:141]
	v_add_f64_e32 v[6:7], v[10:11], v[6:7]
	v_add_f64_e32 v[14:15], v[14:15], v[18:19]
	v_fma_f64 v[28:29], v[138:139], s[16:17], v[20:21]
	v_fma_f64 v[10:11], v[138:139], s[16:17], -v[20:21]
	v_mul_f64_e32 v[20:21], s[14:15], v[144:145]
	v_add_f64_e32 v[26:27], v[26:27], v[30:31]
	v_add_f64_e32 v[64:65], v[80:81], v[64:65]
	v_mul_f64_e32 v[80:81], s[18:19], v[140:141]
	v_add_f64_e32 v[68:69], v[70:71], v[68:69]
	v_add_f64_e32 v[8:9], v[8:9], v[12:13]
	v_fma_f64 v[18:19], v[142:143], s[28:29], -v[16:17]
	v_fma_f64 v[16:17], v[142:143], s[28:29], v[16:17]
	v_mul_f64_e32 v[12:13], s[30:31], v[148:149]
	v_add_f64_e32 v[22:23], v[28:29], v[22:23]
	v_add_f64_e32 v[10:11], v[10:11], v[14:15]
	v_fma_f64 v[24:25], v[146:147], s[28:29], v[20:21]
	v_fma_f64 v[20:21], v[146:147], s[28:29], -v[20:21]
	v_mul_f64_e32 v[28:29], s[30:31], v[152:153]
	v_fma_f64 v[84:85], v[142:143], s[16:17], v[80:81]
	v_fma_f64 v[70:71], v[142:143], s[16:17], -v[80:81]
	v_mul_f64_e32 v[80:81], s[12:13], v[126:127]
	v_add_f64_e32 v[18:19], v[18:19], v[26:27]
	v_add_f64_e32 v[8:9], v[16:17], v[8:9]
	v_fma_f64 v[14:15], v[150:151], s[26:27], -v[12:13]
	v_fma_f64 v[12:13], v[150:151], s[26:27], v[12:13]
	v_add_f64_e32 v[16:17], v[6:7], v[42:43]
	v_add_f64_e32 v[22:23], v[24:25], v[22:23]
	;; [unrolled: 1-line block ×3, first 2 shown]
	v_fma_f64 v[30:31], v[154:155], s[26:27], v[28:29]
	v_add_f64_e32 v[24:25], v[4:5], v[40:41]
	v_fma_f64 v[28:29], v[154:155], s[26:27], -v[28:29]
	v_add_f64_e32 v[62:63], v[84:85], v[62:63]
	v_mul_f64_e32 v[84:85], s[18:19], v[144:145]
	v_add_f64_e32 v[66:67], v[70:71], v[66:67]
	v_add_f64_e32 v[6:7], v[14:15], v[18:19]
	;; [unrolled: 1-line block ×3, first 2 shown]
	s_clause 0x1
	scratch_load_b32 v12, off, off offset:540 th:TH_LOAD_LU
	scratch_load_b32 v13, off, off offset:500 th:TH_LOAD_LU
	v_add_f64_e32 v[2:3], v[16:17], v[2:3]
	v_add_f64_e32 v[4:5], v[30:31], v[22:23]
	;; [unrolled: 1-line block ×4, first 2 shown]
	v_fma_f64 v[70:71], v[146:147], s[16:17], v[84:85]
	v_fma_f64 v[86:87], v[146:147], s[16:17], -v[84:85]
	v_fma_f64 v[84:85], v[56:57], s[2:3], v[80:81]
	s_delay_alu instid0(VALU_DEP_3) | instskip(SKIP_1) | instid1(VALU_DEP_4)
	v_add_f64_e32 v[70:71], v[70:71], v[68:69]
	v_fma_f64 v[68:69], v[150:151], s[20:21], -v[98:99]
	v_add_f64_e32 v[86:87], v[86:87], v[64:65]
	v_fma_f64 v[64:65], v[150:151], s[20:21], v[98:99]
	s_delay_alu instid0(VALU_DEP_3) | instskip(SKIP_2) | instid1(VALU_DEP_4)
	v_add_f64_e32 v[68:69], v[68:69], v[66:67]
	v_add_f64_e32 v[66:67], v[72:73], v[70:71]
	v_fma_f64 v[70:71], v[52:53], s[20:21], v[74:75]
	v_add_f64_e32 v[64:65], v[64:65], v[62:63]
	v_fma_f64 v[62:63], v[154:155], s[20:21], -v[156:157]
	v_fma_f64 v[72:73], v[58:59], s[20:21], -v[78:79]
	;; [unrolled: 1-line block ×3, first 2 shown]
	v_fma_f64 v[78:79], v[58:59], s[20:21], v[78:79]
	v_mul_f64_e32 v[156:157], s[18:19], v[152:153]
	v_add_f64_e32 v[70:71], v[70:71], v[102:103]
	v_mul_f64_e32 v[102:103], s[18:19], v[148:149]
	v_add_f64_e32 v[62:63], v[62:63], v[86:87]
	v_add_f64_e32 v[72:73], v[72:73], v[90:91]
	v_add_f64_e32 v[74:75], v[74:75], v[104:105]
	v_add_f64_e32 v[76:77], v[78:79], v[76:77]
	v_fma_f64 v[78:79], v[56:57], s[2:3], -v[80:81]
	v_fma_f64 v[80:81], v[154:155], s[16:17], v[156:157]
	v_mul_f64_e32 v[104:105], s[10:11], v[136:137]
	v_add_f64_e32 v[70:71], v[84:85], v[70:71]
	v_mul_f64_e32 v[84:85], s[12:13], v[128:129]
	v_add_f64_e32 v[74:75], v[78:79], v[74:75]
	s_delay_alu instid0(VALU_DEP_2) | instskip(SKIP_1) | instid1(VALU_DEP_2)
	v_fma_f64 v[86:87], v[130:131], s[2:3], -v[84:85]
	v_fma_f64 v[78:79], v[130:131], s[2:3], v[84:85]
	v_add_f64_e32 v[72:73], v[86:87], v[72:73]
	v_mul_f64_e32 v[86:87], s[42:43], v[132:133]
	s_delay_alu instid0(VALU_DEP_3) | instskip(NEXT) | instid1(VALU_DEP_2)
	v_add_f64_e32 v[76:77], v[78:79], v[76:77]
	v_fma_f64 v[88:89], v[134:135], s[26:27], v[86:87]
	v_fma_f64 v[78:79], v[134:135], s[26:27], -v[86:87]
	v_fma_f64 v[86:87], v[58:59], s[16:17], v[164:165]
	s_wait_loadcnt 0x1
	v_mul_u32_u24_e32 v12, 52, v12
	s_wait_loadcnt 0x0
	s_delay_alu instid0(VALU_DEP_1) | instskip(NEXT) | instid1(VALU_DEP_1)
	v_or_b32_e32 v12, v12, v13
	v_lshlrev_b32_e32 v12, 4, v12
	v_add_f64_e32 v[70:71], v[88:89], v[70:71]
	v_mul_f64_e32 v[88:89], s[42:43], v[136:137]
	v_add_f64_e32 v[74:75], v[78:79], v[74:75]
	v_add_f64_e32 v[82:83], v[86:87], v[82:83]
	v_fma_f64 v[86:87], v[56:57], s[26:27], -v[166:167]
	s_delay_alu instid0(VALU_DEP_4) | instskip(SKIP_1) | instid1(VALU_DEP_2)
	v_fma_f64 v[90:91], v[138:139], s[26:27], -v[88:89]
	v_fma_f64 v[78:79], v[138:139], s[26:27], v[88:89]
	v_add_f64_e32 v[72:73], v[90:91], v[72:73]
	v_mul_f64_e32 v[90:91], s[24:25], v[140:141]
	s_delay_alu instid0(VALU_DEP_3) | instskip(NEXT) | instid1(VALU_DEP_2)
	v_add_f64_e32 v[76:77], v[78:79], v[76:77]
	v_fma_f64 v[98:99], v[142:143], s[22:23], v[90:91]
	v_fma_f64 v[78:79], v[142:143], s[22:23], -v[90:91]
	v_mul_f64_e32 v[90:91], s[40:41], v[122:123]
	s_delay_alu instid0(VALU_DEP_3) | instskip(SKIP_1) | instid1(VALU_DEP_4)
	v_add_f64_e32 v[70:71], v[98:99], v[70:71]
	v_mul_f64_e32 v[98:99], s[24:25], v[144:145]
	v_add_f64_e32 v[74:75], v[78:79], v[74:75]
	s_delay_alu instid0(VALU_DEP_2) | instskip(SKIP_2) | instid1(VALU_DEP_3)
	v_fma_f64 v[78:79], v[146:147], s[22:23], v[98:99]
	v_fma_f64 v[100:101], v[146:147], s[22:23], -v[98:99]
	v_mul_f64_e32 v[98:99], s[40:41], v[124:125]
	v_add_f64_e32 v[78:79], v[78:79], v[76:77]
	v_fma_f64 v[76:77], v[150:151], s[16:17], -v[102:103]
	s_delay_alu instid0(VALU_DEP_4) | instskip(SKIP_2) | instid1(VALU_DEP_4)
	v_add_f64_e32 v[100:101], v[100:101], v[72:73]
	v_fma_f64 v[72:73], v[150:151], s[16:17], v[102:103]
	v_mul_f64_e32 v[102:103], s[10:11], v[132:133]
	v_add_f64_e32 v[76:77], v[76:77], v[74:75]
	v_add_f64_e32 v[74:75], v[80:81], v[78:79]
	v_fma_f64 v[80:81], v[58:59], s[28:29], -v[98:99]
	v_add_f64_e32 v[72:73], v[72:73], v[70:71]
	v_fma_f64 v[70:71], v[154:155], s[16:17], -v[156:157]
	v_fma_f64 v[78:79], v[52:53], s[28:29], v[90:91]
	v_mul_f64_e32 v[156:157], s[42:43], v[144:145]
	v_fma_f64 v[90:91], v[52:53], s[28:29], -v[90:91]
	v_fma_f64 v[98:99], v[58:59], s[28:29], v[98:99]
	v_add_f64_e32 v[80:81], v[80:81], v[92:93]
	v_mul_f64_e32 v[92:93], s[24:25], v[126:127]
	v_add_f64_e32 v[70:71], v[70:71], v[100:101]
	v_add_f64_e32 v[78:79], v[78:79], v[106:107]
	v_mul_f64_e32 v[100:101], s[24:25], v[128:129]
	v_mul_f64_e32 v[106:107], s[42:43], v[140:141]
	v_add_f64_e32 v[90:91], v[90:91], v[108:109]
	v_add_f64_e32 v[98:99], v[98:99], v[110:111]
	v_fma_f64 v[84:85], v[56:57], s[22:23], v[92:93]
	v_fma_f64 v[92:93], v[56:57], s[22:23], -v[92:93]
	s_delay_alu instid0(VALU_DEP_2) | instskip(SKIP_1) | instid1(VALU_DEP_3)
	v_add_f64_e32 v[78:79], v[84:85], v[78:79]
	v_fma_f64 v[84:85], v[130:131], s[22:23], -v[100:101]
	v_add_f64_e32 v[90:91], v[92:93], v[90:91]
	v_fma_f64 v[92:93], v[130:131], s[22:23], v[100:101]
	v_fma_f64 v[100:101], v[154:155], s[2:3], v[160:161]
	s_delay_alu instid0(VALU_DEP_4) | instskip(SKIP_1) | instid1(VALU_DEP_4)
	v_add_f64_e32 v[80:81], v[84:85], v[80:81]
	v_fma_f64 v[84:85], v[134:135], s[20:21], v[102:103]
	v_add_f64_e32 v[92:93], v[92:93], v[98:99]
	v_fma_f64 v[98:99], v[134:135], s[20:21], -v[102:103]
	v_fma_f64 v[102:103], v[56:57], s[26:27], v[166:167]
	s_delay_alu instid0(VALU_DEP_4) | instskip(SKIP_1) | instid1(VALU_DEP_4)
	v_add_f64_e32 v[78:79], v[84:85], v[78:79]
	v_fma_f64 v[84:85], v[138:139], s[20:21], -v[104:105]
	v_add_f64_e32 v[90:91], v[98:99], v[90:91]
	v_fma_f64 v[98:99], v[138:139], s[20:21], v[104:105]
	v_fma_f64 v[104:105], v[154:155], s[22:23], -v[180:181]
	s_delay_alu instid0(VALU_DEP_4) | instskip(SKIP_1) | instid1(VALU_DEP_4)
	v_add_f64_e32 v[80:81], v[84:85], v[80:81]
	v_fma_f64 v[84:85], v[142:143], s[26:27], v[106:107]
	v_add_f64_e32 v[92:93], v[98:99], v[92:93]
	v_fma_f64 v[98:99], v[142:143], s[26:27], -v[106:107]
	s_delay_alu instid0(VALU_DEP_3) | instskip(SKIP_1) | instid1(VALU_DEP_3)
	v_add_f64_e32 v[78:79], v[84:85], v[78:79]
	v_fma_f64 v[84:85], v[146:147], s[26:27], -v[156:157]
	v_add_f64_e32 v[90:91], v[98:99], v[90:91]
	v_fma_f64 v[98:99], v[146:147], s[26:27], v[156:157]
	s_delay_alu instid0(VALU_DEP_3) | instskip(SKIP_1) | instid1(VALU_DEP_3)
	v_add_f64_e32 v[84:85], v[84:85], v[80:81]
	v_fma_f64 v[80:81], v[150:151], s[2:3], v[158:159]
	v_add_f64_e32 v[98:99], v[98:99], v[92:93]
	v_fma_f64 v[92:93], v[150:151], s[2:3], -v[158:159]
	s_delay_alu instid0(VALU_DEP_3) | instskip(SKIP_1) | instid1(VALU_DEP_3)
	v_add_f64_e32 v[80:81], v[80:81], v[78:79]
	v_fma_f64 v[78:79], v[154:155], s[2:3], -v[160:161]
	v_add_f64_e32 v[92:93], v[92:93], v[90:91]
	v_add_f64_e32 v[90:91], v[100:101], v[98:99]
	v_fma_f64 v[100:101], v[154:155], s[28:29], -v[206:207]
	s_delay_alu instid0(VALU_DEP_4) | instskip(SKIP_1) | instid1(VALU_DEP_1)
	v_add_f64_e32 v[78:79], v[78:79], v[84:85]
	v_fma_f64 v[84:85], v[52:53], s[16:17], -v[162:163]
	v_add_f64_e32 v[84:85], v[84:85], v[96:97]
	v_mul_f64_e32 v[96:97], s[30:31], v[122:123]
	s_delay_alu instid0(VALU_DEP_2) | instskip(SKIP_1) | instid1(VALU_DEP_1)
	v_add_f64_e32 v[84:85], v[86:87], v[84:85]
	v_fma_f64 v[86:87], v[130:131], s[26:27], v[168:169]
	v_add_f64_e32 v[82:83], v[86:87], v[82:83]
	v_fma_f64 v[86:87], v[134:135], s[28:29], -v[170:171]
	s_delay_alu instid0(VALU_DEP_1) | instskip(SKIP_1) | instid1(VALU_DEP_1)
	v_add_f64_e32 v[84:85], v[86:87], v[84:85]
	v_fma_f64 v[86:87], v[138:139], s[28:29], v[172:173]
	v_add_f64_e32 v[82:83], v[86:87], v[82:83]
	v_fma_f64 v[86:87], v[142:143], s[20:21], -v[174:175]
	s_delay_alu instid0(VALU_DEP_1) | instskip(SKIP_1) | instid1(VALU_DEP_1)
	;; [unrolled: 5-line block ×3, first 2 shown]
	v_add_f64_e32 v[84:85], v[86:87], v[84:85]
	v_fma_f64 v[86:87], v[154:155], s[22:23], v[180:181]
	v_add_f64_e32 v[82:83], v[86:87], v[82:83]
	v_fma_f64 v[86:87], v[52:53], s[26:27], -v[96:97]
	v_fma_f64 v[96:97], v[52:53], s[26:27], v[96:97]
	s_delay_alu instid0(VALU_DEP_2) | instskip(SKIP_1) | instid1(VALU_DEP_3)
	v_add_f64_e32 v[86:87], v[86:87], v[114:115]
	v_mul_f64_e32 v[114:115], s[30:31], v[124:125]
	v_add_f64_e32 v[96:97], v[96:97], v[112:113]
	s_delay_alu instid0(VALU_DEP_2) | instskip(SKIP_1) | instid1(VALU_DEP_2)
	v_fma_f64 v[88:89], v[58:59], s[26:27], v[114:115]
	v_fma_f64 v[98:99], v[58:59], s[26:27], -v[114:115]
	v_add_f64_e32 v[88:89], v[88:89], v[116:117]
	v_mul_f64_e32 v[116:117], s[36:37], v[126:127]
	s_delay_alu instid0(VALU_DEP_3) | instskip(NEXT) | instid1(VALU_DEP_2)
	v_add_f64_e32 v[94:95], v[98:99], v[94:95]
	v_fma_f64 v[183:184], v[56:57], s[16:17], -v[116:117]
	v_fma_f64 v[98:99], v[56:57], s[16:17], v[116:117]
	s_delay_alu instid0(VALU_DEP_2) | instskip(SKIP_1) | instid1(VALU_DEP_3)
	v_add_f64_e32 v[86:87], v[183:184], v[86:87]
	v_mul_f64_e32 v[183:184], s[36:37], v[128:129]
	v_add_f64_e32 v[96:97], v[98:99], v[96:97]
	s_delay_alu instid0(VALU_DEP_2) | instskip(SKIP_1) | instid1(VALU_DEP_2)
	v_fma_f64 v[185:186], v[130:131], s[16:17], v[183:184]
	v_fma_f64 v[98:99], v[130:131], s[16:17], -v[183:184]
	v_add_f64_e32 v[88:89], v[185:186], v[88:89]
	v_mul_f64_e32 v[185:186], s[24:25], v[132:133]
	s_delay_alu instid0(VALU_DEP_3) | instskip(NEXT) | instid1(VALU_DEP_2)
	;; [unrolled: 13-line block ×3, first 2 shown]
	v_add_f64_e32 v[94:95], v[98:99], v[94:95]
	v_fma_f64 v[200:201], v[142:143], s[2:3], -v[198:199]
	v_fma_f64 v[98:99], v[142:143], s[2:3], v[198:199]
	s_delay_alu instid0(VALU_DEP_2) | instskip(SKIP_1) | instid1(VALU_DEP_3)
	v_add_f64_e32 v[86:87], v[200:201], v[86:87]
	v_mul_f64_e32 v[200:201], s[12:13], v[144:145]
	v_add_f64_e32 v[96:97], v[98:99], v[96:97]
	s_delay_alu instid0(VALU_DEP_2) | instskip(SKIP_1) | instid1(VALU_DEP_2)
	v_fma_f64 v[98:99], v[146:147], s[2:3], -v[200:201]
	v_fma_f64 v[202:203], v[146:147], s[2:3], v[200:201]
	v_add_f64_e32 v[94:95], v[98:99], v[94:95]
	v_fma_f64 v[98:99], v[150:151], s[28:29], v[204:205]
	s_delay_alu instid0(VALU_DEP_3) | instskip(SKIP_1) | instid1(VALU_DEP_4)
	v_add_f64_e32 v[202:203], v[202:203], v[88:89]
	v_fma_f64 v[88:89], v[150:151], s[28:29], -v[204:205]
	v_add_f64_e32 v[94:95], v[100:101], v[94:95]
	s_delay_alu instid0(VALU_DEP_4) | instskip(SKIP_4) | instid1(VALU_DEP_4)
	v_add_f64_e32 v[96:97], v[98:99], v[96:97]
	v_fma_f64 v[98:99], v[52:53], s[16:17], v[162:163]
	v_fma_f64 v[100:101], v[58:59], s[16:17], -v[164:165]
	v_add_f64_e32 v[88:89], v[88:89], v[86:87]
	v_fma_f64 v[86:87], v[154:155], s[28:29], v[206:207]
	v_add_f64_e32 v[98:99], v[98:99], v[118:119]
	s_delay_alu instid0(VALU_DEP_4) | instskip(NEXT) | instid1(VALU_DEP_3)
	v_add_f64_e32 v[100:101], v[100:101], v[120:121]
	v_add_f64_e32 v[86:87], v[86:87], v[202:203]
	s_delay_alu instid0(VALU_DEP_3) | instskip(SKIP_1) | instid1(VALU_DEP_1)
	v_add_f64_e32 v[98:99], v[102:103], v[98:99]
	v_fma_f64 v[102:103], v[130:131], s[26:27], -v[168:169]
	v_add_f64_e32 v[100:101], v[102:103], v[100:101]
	v_fma_f64 v[102:103], v[134:135], s[28:29], v[170:171]
	s_delay_alu instid0(VALU_DEP_1) | instskip(SKIP_1) | instid1(VALU_DEP_1)
	v_add_f64_e32 v[98:99], v[102:103], v[98:99]
	v_fma_f64 v[102:103], v[138:139], s[28:29], -v[172:173]
	v_add_f64_e32 v[100:101], v[102:103], v[100:101]
	v_fma_f64 v[102:103], v[142:143], s[20:21], v[174:175]
	s_delay_alu instid0(VALU_DEP_1) | instskip(SKIP_1) | instid1(VALU_DEP_1)
	v_add_f64_e32 v[98:99], v[102:103], v[98:99]
	v_fma_f64 v[102:103], v[146:147], s[20:21], -v[176:177]
	v_add_f64_e32 v[102:103], v[102:103], v[100:101]
	v_fma_f64 v[100:101], v[150:151], s[22:23], v[178:179]
	s_delay_alu instid0(VALU_DEP_1) | instskip(NEXT) | instid1(VALU_DEP_3)
	v_add_f64_e32 v[100:101], v[100:101], v[98:99]
	v_add_f64_e32 v[98:99], v[104:105], v[102:103]
	ds_store_b128 v12, v[82:85] offset:128
	ds_store_b128 v12, v[86:89] offset:192
	;; [unrolled: 1-line block ×11, first 2 shown]
	ds_store_b128 v12, v[0:3]
	ds_store_b128 v12, v[8:11] offset:768
.LBB0_29:
	s_wait_alu 0xfffe
	s_or_b32 exec_lo, exec_lo, s1
	global_wb scope:SCOPE_SE
	s_wait_dscnt 0x0
	s_barrier_signal -1
	s_barrier_wait -1
	global_inv scope:SCOPE_SE
	ds_load_b128 v[4:7], v182 offset:2496
	ds_load_b128 v[8:11], v182 offset:3328
	ds_load_b128 v[0:3], v182 offset:1664
	ds_load_b128 v[12:15], v182 offset:4992
	scratch_load_b128 v[64:67], off, off offset:592 th:TH_LOAD_LU ; 16-byte Folded Reload
	ds_load_b128 v[16:19], v182 offset:5824
	ds_load_b128 v[20:23], v182 offset:4160
	scratch_load_b128 v[74:77], off, off offset:576 th:TH_LOAD_LU ; 16-byte Folded Reload
	ds_load_b128 v[24:27], v182 offset:7488
	ds_load_b128 v[28:31], v182 offset:8320
	;; [unrolled: 1-line block ×5, first 2 shown]
	s_mov_b32 s2, 0x37e14327
	s_mov_b32 s0, 0x36b3c0b5
	;; [unrolled: 1-line block ×11, first 2 shown]
	s_wait_alu 0xfffe
	s_mov_b32 s12, s10
	s_mov_b32 s18, 0xb247c609
	;; [unrolled: 1-line block ×4, first 2 shown]
	s_wait_alu 0xfffe
	s_mov_b32 s20, s18
	s_wait_dscnt 0x2
	v_mul_f64_e32 v[68:69], v[190:191], v[34:35]
	v_mul_f64_e32 v[60:61], v[194:195], v[26:27]
	;; [unrolled: 1-line block ×3, first 2 shown]
	s_wait_dscnt 0x1
	v_mul_f64_e32 v[72:73], v[190:191], v[38:39]
	v_mul_f64_e32 v[70:71], v[190:191], v[32:33]
	v_fma_f64 v[32:33], v[188:189], v[32:33], v[68:69]
	v_fma_f64 v[60:61], v[192:193], v[24:25], v[60:61]
	v_fma_f64 v[62:63], v[192:193], v[26:27], -v[62:63]
	s_delay_alu instid0(VALU_DEP_4)
	v_fma_f64 v[34:35], v[188:189], v[34:35], -v[70:71]
	s_wait_loadcnt 0x1
	v_mul_f64_e32 v[44:45], v[66:67], v[6:7]
	v_mul_f64_e32 v[46:47], v[66:67], v[4:5]
	v_mul_f64_e32 v[48:49], v[66:67], v[10:11]
	v_mul_f64_e32 v[50:51], v[66:67], v[8:9]
	s_wait_loadcnt 0x0
	v_mul_f64_e32 v[52:53], v[76:77], v[14:15]
	v_mul_f64_e32 v[54:55], v[76:77], v[12:13]
	;; [unrolled: 1-line block ×5, first 2 shown]
	v_fma_f64 v[44:45], v[64:65], v[4:5], v[44:45]
	v_fma_f64 v[46:47], v[64:65], v[6:7], -v[46:47]
	v_fma_f64 v[48:49], v[64:65], v[8:9], v[48:49]
	v_fma_f64 v[50:51], v[64:65], v[10:11], -v[50:51]
	ds_load_b128 v[4:7], v182 offset:9152
	ds_load_b128 v[8:11], v182 offset:12480
	v_fma_f64 v[52:53], v[74:75], v[12:13], v[52:53]
	v_fma_f64 v[54:55], v[74:75], v[14:15], -v[54:55]
	v_fma_f64 v[56:57], v[74:75], v[16:17], v[56:57]
	v_fma_f64 v[58:59], v[74:75], v[18:19], -v[58:59]
	ds_load_b128 v[12:15], v182 offset:13312
	ds_load_b128 v[16:19], v182 offset:11648
	ds_load_b128 v[24:27], v182 offset:14144
	s_clause 0x5
	scratch_load_b128 v[78:81], off, off offset:560 th:TH_LOAD_LU
	scratch_load_b128 v[110:113], off, off offset:608 th:TH_LOAD_LU
	;; [unrolled: 1-line block ×6, first 2 shown]
	v_mul_f64_e32 v[64:65], v[194:195], v[30:31]
	v_mul_f64_e32 v[74:75], v[190:191], v[36:37]
	v_fma_f64 v[36:37], v[188:189], v[36:37], v[72:73]
	v_fma_f64 v[66:67], v[192:193], v[30:31], -v[66:67]
	scratch_load_b128 v[86:89], off, off offset:696 th:TH_LOAD_LU ; 16-byte Folded Reload
	v_fma_f64 v[64:65], v[192:193], v[28:29], v[64:65]
	v_fma_f64 v[38:39], v[188:189], v[38:39], -v[74:75]
	ds_load_b128 v[28:31], v182 offset:14976
	v_add_f64_e32 v[100:101], v[64:65], v[36:37]
	v_add_f64_e64 v[36:37], v[36:37], -v[64:65]
	v_add_f64_e64 v[64:65], v[38:39], -v[66:67]
	v_add_f64_e32 v[38:39], v[66:67], v[38:39]
	s_wait_loadcnt_dscnt 0x604
	v_mul_f64_e32 v[76:77], v[80:81], v[10:11]
	v_mul_f64_e32 v[68:69], v[80:81], v[8:9]
	s_wait_dscnt 0x3
	v_mul_f64_e32 v[72:73], v[80:81], v[12:13]
	v_mul_f64_e32 v[70:71], v[80:81], v[14:15]
	s_wait_loadcnt 0x2
	v_mul_f64_e32 v[80:81], v[92:93], v[42:43]
	s_wait_dscnt 0x1
	v_mul_f64_e32 v[96:97], v[112:113], v[26:27]
	v_fma_f64 v[74:75], v[78:79], v[8:9], v[76:77]
	v_fma_f64 v[68:69], v[78:79], v[10:11], -v[68:69]
	ds_load_b128 v[8:11], v182 offset:15808
	v_fma_f64 v[14:15], v[78:79], v[14:15], -v[72:73]
	v_fma_f64 v[12:13], v[78:79], v[12:13], v[70:71]
	s_wait_dscnt 0x1
	v_mul_f64_e32 v[76:77], v[84:85], v[30:31]
	v_mul_f64_e32 v[70:71], v[84:85], v[28:29]
	s_wait_dscnt 0x0
	v_mul_f64_e32 v[72:73], v[84:85], v[10:11]
	v_mul_f64_e32 v[78:79], v[84:85], v[8:9]
	v_add_f64_e32 v[98:99], v[58:59], v[14:15]
	v_add_f64_e64 v[58:59], v[58:59], -v[14:15]
	v_fma_f64 v[28:29], v[82:83], v[28:29], v[76:77]
	v_fma_f64 v[30:31], v[82:83], v[30:31], -v[70:71]
	v_fma_f64 v[72:73], v[82:83], v[8:9], v[72:73]
	v_mul_f64_e32 v[8:9], v[92:93], v[40:41]
	scratch_load_b128 v[92:95], off, off offset:680 th:TH_LOAD_LU ; 16-byte Folded Reload
	s_wait_loadcnt 0x1
	v_mul_f64_e32 v[70:71], v[88:89], v[22:23]
	v_mul_f64_e32 v[76:77], v[88:89], v[20:21]
	v_fma_f64 v[78:79], v[82:83], v[10:11], -v[78:79]
	v_fma_f64 v[40:41], v[90:91], v[40:41], v[80:81]
	v_add_f64_e32 v[88:89], v[54:55], v[68:69]
	v_add_f64_e64 v[54:55], v[54:55], -v[68:69]
	v_fma_f64 v[42:43], v[90:91], v[42:43], -v[8:9]
	ds_load_b128 v[8:11], v182 offset:16640
	v_fma_f64 v[20:21], v[86:87], v[20:21], v[70:71]
	v_fma_f64 v[22:23], v[86:87], v[22:23], -v[76:77]
	v_add_f64_e32 v[70:71], v[44:45], v[28:29]
	v_add_f64_e32 v[86:87], v[52:53], v[74:75]
	;; [unrolled: 1-line block ×3, first 2 shown]
	v_add_f64_e64 v[52:53], v[52:53], -v[74:75]
	v_mul_f64_e32 v[74:75], v[112:113], v[24:25]
	v_add_f64_e64 v[28:29], v[44:45], -v[28:29]
	v_add_f64_e64 v[30:31], v[46:47], -v[30:31]
	v_add_f64_e32 v[44:45], v[48:49], v[72:73]
	v_add_f64_e32 v[46:47], v[56:57], v[12:13]
	v_add_f64_e64 v[56:57], v[56:57], -v[12:13]
	v_fma_f64 v[24:25], v[110:111], v[24:25], v[96:97]
	v_add_f64_e32 v[96:97], v[64:65], v[58:59]
	s_wait_dscnt 0x0
	v_mul_f64_e32 v[68:69], v[108:109], v[10:11]
	v_add_f64_e32 v[90:91], v[88:89], v[76:77]
	v_fma_f64 v[26:27], v[110:111], v[26:27], -v[74:75]
	s_delay_alu instid0(VALU_DEP_3) | instskip(SKIP_4) | instid1(VALU_DEP_3)
	v_fma_f64 v[68:69], v[106:107], v[8:9], v[68:69]
	s_wait_loadcnt 0x0
	v_mul_f64_e32 v[82:83], v[94:95], v[6:7]
	v_mul_f64_e32 v[84:85], v[94:95], v[4:5]
	;; [unrolled: 1-line block ×3, first 2 shown]
	v_fma_f64 v[80:81], v[92:93], v[4:5], v[82:83]
	v_add_f64_e32 v[4:5], v[60:61], v[32:33]
	s_delay_alu instid0(VALU_DEP_4)
	v_fma_f64 v[82:83], v[92:93], v[6:7], -v[84:85]
	v_add_f64_e32 v[84:85], v[62:63], v[34:35]
	v_add_f64_e64 v[32:33], v[32:33], -v[60:61]
	v_mul_f64_e32 v[60:61], v[108:109], v[8:9]
	v_add_f64_e64 v[34:35], v[34:35], -v[62:63]
	v_add_f64_e32 v[62:63], v[50:51], v[78:79]
	v_add_f64_e32 v[6:7], v[86:87], v[70:71]
	v_mul_f64_e32 v[92:93], v[116:117], v[18:19]
	v_add_f64_e64 v[8:9], v[48:49], -v[72:73]
	v_add_f64_e64 v[48:49], v[50:51], -v[78:79]
	;; [unrolled: 1-line block ×3, first 2 shown]
	v_fma_f64 v[18:19], v[114:115], v[18:19], -v[94:95]
	v_add_f64_e32 v[94:95], v[36:37], v[56:57]
	v_add_f64_e64 v[66:67], v[70:71], -v[4:5]
	v_add_f64_e64 v[104:105], v[4:5], -v[86:87]
	;; [unrolled: 1-line block ×4, first 2 shown]
	v_fma_f64 v[60:61], v[106:107], v[10:11], -v[60:61]
	v_add_f64_e32 v[10:11], v[32:33], v[52:53]
	v_add_f64_e32 v[50:51], v[34:35], v[54:55]
	v_add_f64_e64 v[76:77], v[84:85], -v[88:89]
	v_add_f64_e64 v[78:79], v[32:33], -v[52:53]
	v_add_f64_e32 v[86:87], v[46:47], v[44:45]
	v_add_f64_e64 v[52:53], v[52:53], -v[28:29]
	v_add_f64_e32 v[88:89], v[98:99], v[62:63]
	v_add_f64_e64 v[106:107], v[62:63], -v[38:39]
	v_add_f64_e64 v[62:63], v[98:99], -v[62:63]
	v_add_f64_e64 v[98:99], v[38:39], -v[98:99]
	v_add_f64_e32 v[90:91], v[84:85], v[90:91]
	v_fma_f64 v[16:17], v[114:115], v[16:17], v[92:93]
	v_add_f64_e64 v[84:85], v[34:35], -v[54:55]
	v_add_f64_e64 v[54:55], v[54:55], -v[30:31]
	;; [unrolled: 1-line block ×7, first 2 shown]
	v_add_f64_e32 v[102:103], v[4:5], v[6:7]
	ds_load_b128 v[4:7], v182
	ds_load_b128 v[12:15], v182 offset:832
	v_add_f64_e32 v[94:95], v[94:95], v[8:9]
	global_wb scope:SCOPE_SE
	s_wait_dscnt 0x0
	s_barrier_signal -1
	s_barrier_wait -1
	global_inv scope:SCOPE_SE
	v_mul_f64_e32 v[66:67], s[2:3], v[66:67]
	v_mul_f64_e32 v[108:109], s[0:1], v[104:105]
	;; [unrolled: 1-line block ×3, first 2 shown]
	v_add_f64_e32 v[28:29], v[10:11], v[28:29]
	v_add_f64_e64 v[10:11], v[36:37], -v[56:57]
	v_add_f64_e32 v[30:31], v[50:51], v[30:31]
	v_add_f64_e64 v[50:51], v[64:65], -v[58:59]
	v_add_f64_e64 v[64:65], v[48:49], -v[64:65]
	v_add_f64_e64 v[56:57], v[56:57], -v[8:9]
	v_add_f64_e64 v[58:59], v[58:59], -v[48:49]
	v_add_f64_e32 v[86:87], v[100:101], v[86:87]
	v_mul_f64_e32 v[100:101], s[0:1], v[76:77]
	v_mul_f64_e32 v[78:79], s[16:17], v[78:79]
	v_add_f64_e32 v[38:39], v[38:39], v[88:89]
	v_mul_f64_e32 v[88:89], s[14:15], v[52:53]
	v_add_f64_e32 v[48:49], v[96:97], v[48:49]
	v_mul_f64_e32 v[96:97], s[2:3], v[106:107]
	v_add_f64_e64 v[36:37], v[8:9], -v[36:37]
	v_mul_f64_e32 v[84:85], s[16:17], v[84:85]
	v_mul_f64_e32 v[8:9], s[14:15], v[54:55]
	;; [unrolled: 1-line block ×4, first 2 shown]
	v_add_f64_e32 v[4:5], v[4:5], v[102:103]
	v_add_f64_e32 v[6:7], v[6:7], v[90:91]
	v_fma_f64 v[104:105], v[104:105], s[0:1], v[66:67]
	v_fma_f64 v[108:109], v[70:71], s[10:11], -v[108:109]
	v_fma_f64 v[66:67], v[70:71], s[12:13], -v[66:67]
	v_mul_f64_e32 v[70:71], s[0:1], v[98:99]
	v_fma_f64 v[76:77], v[76:77], s[0:1], v[74:75]
	v_mul_f64_e32 v[110:111], s[16:17], v[10:11]
	v_mul_f64_e32 v[50:51], s[16:17], v[50:51]
	v_fma_f64 v[100:101], v[72:73], s[10:11], -v[100:101]
	v_fma_f64 v[72:73], v[72:73], s[12:13], -v[74:75]
	v_mul_f64_e32 v[74:75], s[14:15], v[56:57]
	v_fma_f64 v[52:53], v[52:53], s[14:15], -v[78:79]
	v_fma_f64 v[78:79], v[32:33], s[18:19], v[78:79]
	s_wait_alu 0xfffe
	v_fma_f64 v[32:33], v[32:33], s[20:21], -v[88:89]
	v_add_f64_e32 v[10:11], v[14:15], v[38:39]
	v_fma_f64 v[14:15], v[98:99], s[0:1], v[96:97]
	v_add_f64_e32 v[88:89], v[20:21], v[68:69]
	v_fma_f64 v[54:55], v[54:55], s[14:15], -v[84:85]
	v_fma_f64 v[84:85], v[34:35], s[18:19], v[84:85]
	v_fma_f64 v[34:35], v[34:35], s[20:21], -v[8:9]
	v_add_f64_e32 v[8:9], v[12:13], v[86:87]
	v_fma_f64 v[12:13], v[46:47], s[0:1], v[44:45]
	v_fma_f64 v[46:47], v[92:93], s[10:11], -v[106:107]
	v_fma_f64 v[44:45], v[92:93], s[12:13], -v[44:45]
	v_add_f64_e32 v[92:93], v[22:23], v[60:61]
	v_add_f64_e32 v[98:99], v[42:43], v[26:27]
	v_add_f64_e64 v[26:27], v[42:43], -v[26:27]
	v_add_f64_e32 v[42:43], v[82:83], v[18:19]
	v_add_f64_e64 v[18:19], v[18:19], -v[82:83]
	v_mul_f64_e32 v[82:83], s[14:15], v[58:59]
	v_add_f64_e64 v[20:21], v[20:21], -v[68:69]
	v_add_f64_e64 v[22:23], v[22:23], -v[60:61]
	v_fma_f64 v[70:71], v[62:63], s[10:11], -v[70:71]
	v_fma_f64 v[62:63], v[62:63], s[12:13], -v[96:97]
	v_add_f64_e32 v[96:97], v[40:41], v[24:25]
	v_fma_f64 v[106:107], v[36:37], s[18:19], v[110:111]
	v_add_f64_e64 v[24:25], v[40:41], -v[24:25]
	v_add_f64_e32 v[40:41], v[80:81], v[16:17]
	v_add_f64_e64 v[16:17], v[16:17], -v[80:81]
	v_fma_f64 v[58:59], v[58:59], s[14:15], -v[50:51]
	v_fma_f64 v[50:51], v[64:65], s[18:19], v[50:51]
	v_fma_f64 v[56:57], v[56:57], s[14:15], -v[110:111]
	v_fma_f64 v[36:37], v[36:37], s[20:21], -v[74:75]
	v_add_f64_e32 v[80:81], v[98:99], v[92:93]
	v_add_f64_e32 v[60:61], v[18:19], v[26:27]
	v_fma_f64 v[64:65], v[64:65], s[20:21], -v[82:83]
	v_add_f64_e32 v[74:75], v[96:97], v[88:89]
	v_add_f64_e64 v[82:83], v[88:89], -v[40:41]
	v_add_f64_e32 v[68:69], v[16:17], v[24:25]
	v_add_f64_e64 v[88:89], v[96:97], -v[88:89]
	v_add_f64_e32 v[80:81], v[42:43], v[80:81]
	v_add_f64_e32 v[74:75], v[40:41], v[74:75]
	v_add_f64_e64 v[40:41], v[40:41], -v[96:97]
	v_add_f64_e64 v[96:97], v[98:99], -v[92:93]
	;; [unrolled: 1-line block ×7, first 2 shown]
	v_add_f64_e32 v[20:21], v[68:69], v[20:21]
	v_add_f64_e64 v[68:69], v[18:19], -v[26:27]
	v_add_f64_e64 v[18:19], v[22:23], -v[18:19]
	;; [unrolled: 1-line block ×3, first 2 shown]
	v_add_f64_e32 v[22:23], v[60:61], v[22:23]
	v_mul_f64_e32 v[60:61], s[2:3], v[82:83]
	v_add_f64_e32 v[2:3], v[2:3], v[80:81]
	v_add_f64_e32 v[0:1], v[0:1], v[74:75]
	v_mul_f64_e32 v[82:83], s[0:1], v[40:41]
	v_mul_f64_e32 v[92:93], s[2:3], v[92:93]
	s_mov_b32 s2, 0xaaaaaaaa
	v_mul_f64_e32 v[98:99], s[16:17], v[98:99]
	s_mov_b32 s3, 0xbff2aaaa
	s_wait_alu 0xfffe
	v_fma_f64 v[102:103], v[102:103], s[2:3], v[4:5]
	v_mul_f64_e32 v[68:69], s[16:17], v[68:69]
	v_fma_f64 v[90:91], v[90:91], s[2:3], v[6:7]
	v_fma_f64 v[86:87], v[86:87], s[2:3], v[8:9]
	;; [unrolled: 1-line block ×4, first 2 shown]
	v_fma_f64 v[60:61], v[88:89], s[12:13], -v[60:61]
	v_fma_f64 v[80:81], v[80:81], s[2:3], v[2:3]
	v_fma_f64 v[74:75], v[74:75], s[2:3], v[0:1]
	v_fma_f64 v[82:83], v[88:89], s[10:11], -v[82:83]
	v_mul_f64_e32 v[88:89], s[14:15], v[24:25]
	s_mov_b32 s3, 0x3febb67a
	v_fma_f64 v[24:25], v[24:25], s[14:15], -v[98:99]
	v_fma_f64 v[98:99], v[16:17], s[18:19], v[98:99]
	v_add_f64_e32 v[66:67], v[66:67], v[102:103]
	v_add_f64_e32 v[76:77], v[76:77], v[90:91]
	;; [unrolled: 1-line block ×8, first 2 shown]
	v_fma_f64 v[16:17], v[16:17], s[20:21], -v[88:89]
	v_mul_f64_e32 v[88:89], s[14:15], v[26:27]
	v_fma_f64 v[26:27], v[26:27], s[14:15], -v[68:69]
	v_fma_f64 v[68:69], v[18:19], s[18:19], v[68:69]
	s_delay_alu instid0(VALU_DEP_3)
	v_fma_f64 v[18:19], v[18:19], s[20:21], -v[88:89]
	v_mul_f64_e32 v[88:89], s[0:1], v[42:43]
	v_fma_f64 v[42:43], v[42:43], s[0:1], v[92:93]
	s_mov_b32 s0, 0x37c3f68c
	s_mov_b32 s1, 0xbfdc38aa
	v_fma_f64 v[92:93], v[96:97], s[12:13], -v[92:93]
	s_wait_alu 0xfffe
	v_fma_f64 v[84:85], v[30:31], s[0:1], v[84:85]
	v_fma_f64 v[78:79], v[28:29], s[0:1], v[78:79]
	;; [unrolled: 1-line block ×6, first 2 shown]
	v_add_f64_e32 v[52:53], v[46:47], v[86:87]
	v_add_f64_e32 v[54:55], v[70:71], v[38:39]
	;; [unrolled: 1-line block ×3, first 2 shown]
	v_fma_f64 v[86:87], v[48:49], s[0:1], v[50:51]
	v_fma_f64 v[106:107], v[94:95], s[0:1], v[106:107]
	;; [unrolled: 1-line block ×10, first 2 shown]
	v_fma_f64 v[88:89], v[96:97], s[10:11], -v[88:89]
	v_add_f64_e32 v[96:97], v[104:105], v[102:103]
	v_add_f64_e32 v[104:105], v[108:109], v[102:103]
	;; [unrolled: 1-line block ×3, first 2 shown]
	v_fma_f64 v[108:109], v[94:95], s[0:1], v[36:37]
	v_add_f64_e32 v[94:95], v[40:41], v[74:75]
	v_add_f64_e64 v[14:15], v[76:77], -v[78:79]
	v_add_f64_e32 v[16:17], v[34:35], v[66:67]
	v_add_f64_e64 v[18:19], v[72:73], -v[32:33]
	v_fma_f64 v[74:75], v[20:21], s[0:1], v[24:25]
	v_add_f64_e32 v[22:23], v[28:29], v[100:101]
	v_add_f64_e64 v[26:27], v[100:101], -v[28:29]
	v_add_f64_e64 v[28:29], v[66:67], -v[34:35]
	v_add_f64_e32 v[34:35], v[78:79], v[76:77]
	v_add_f64_e32 v[36:37], v[86:87], v[90:91]
	;; [unrolled: 1-line block ×4, first 2 shown]
	v_add_f64_e64 v[44:45], v[52:53], -v[48:49]
	v_add_f64_e32 v[46:47], v[50:51], v[54:55]
	v_add_f64_e32 v[48:49], v[48:49], v[52:53]
	v_add_f64_e64 v[50:51], v[54:55], -v[50:51]
	v_add_f64_e64 v[52:53], v[70:71], -v[64:65]
	;; [unrolled: 1-line block ×3, first 2 shown]
	v_add_f64_e32 v[92:93], v[92:93], v[80:81]
	v_add_f64_e64 v[68:69], v[82:83], -v[120:121]
	s_mov_b32 s0, 0xe8584caa
	s_mov_b32 s1, 0xbfebb67a
	s_wait_alu 0xfffe
	s_mov_b32 s2, s0
	s_movk_i32 s10, 0xfe12
	s_mov_b32 s11, -1
	v_add_f64_e32 v[64:65], v[116:117], v[112:113]
	v_add_f64_e32 v[80:81], v[88:89], v[80:81]
	;; [unrolled: 1-line block ×3, first 2 shown]
	v_add_f64_e64 v[20:21], v[104:105], -v[30:31]
	v_add_f64_e32 v[24:25], v[30:31], v[104:105]
	v_add_f64_e32 v[30:31], v[32:33], v[72:73]
	v_add_f64_e64 v[32:33], v[96:97], -v[84:85]
	v_add_f64_e64 v[38:39], v[102:103], -v[106:107]
	v_add_f64_e64 v[42:43], v[62:63], -v[108:109]
	v_add_f64_e32 v[54:55], v[108:109], v[62:63]
	v_add_f64_e32 v[58:59], v[106:107], v[102:103]
	ds_store_b128 v182, v[4:7]
	ds_store_b128 v182, v[12:15] offset:832
	ds_store_b128 v182, v[16:19] offset:1664
	;; [unrolled: 1-line block ×13, first 2 shown]
	scratch_load_b32 v4, off, off offset:656 th:TH_LOAD_LU ; 4-byte Folded Reload
	v_add_f64_e32 v[60:61], v[114:115], v[94:95]
	v_add_f64_e64 v[62:63], v[110:111], -v[98:99]
	v_add_f64_e64 v[66:67], v[92:93], -v[118:119]
	v_add_f64_e32 v[70:71], v[74:75], v[80:81]
	v_add_f64_e32 v[72:73], v[120:121], v[82:83]
	v_add_f64_e64 v[74:75], v[80:81], -v[74:75]
	v_add_f64_e64 v[76:77], v[112:113], -v[116:117]
	v_add_f64_e32 v[78:79], v[118:119], v[92:93]
	v_add_f64_e64 v[80:81], v[94:95], -v[114:115]
	v_add_f64_e32 v[82:83], v[98:99], v[110:111]
	s_wait_loadcnt 0x0
	ds_store_b128 v4, v[0:3] offset:11648
	ds_store_b128 v4, v[60:63] offset:12480
	;; [unrolled: 1-line block ×7, first 2 shown]
	global_wb scope:SCOPE_SE
	s_wait_dscnt 0x0
	s_barrier_signal -1
	s_barrier_wait -1
	global_inv scope:SCOPE_SE
	ds_load_b128 v[0:3], v182 offset:5824
	ds_load_b128 v[4:7], v182 offset:11648
	ds_load_b128 v[8:11], v182 offset:6656
	ds_load_b128 v[12:15], v182 offset:12480
	ds_load_b128 v[16:19], v182 offset:7488
	ds_load_b128 v[20:23], v182 offset:13312
	ds_load_b128 v[24:27], v182 offset:8320
	ds_load_b128 v[28:31], v182 offset:4992
	scratch_load_b128 v[110:113], off, off offset:640 th:TH_LOAD_LU ; 16-byte Folded Reload
	ds_load_b128 v[32:35], v182 offset:14144
	ds_load_b128 v[36:39], v182 offset:9152
	;; [unrolled: 1-line block ×4, first 2 shown]
	scratch_load_b128 v[118:121], off, off offset:904 th:TH_LOAD_LU ; 16-byte Folded Reload
	s_wait_loadcnt_dscnt 0x10b
	v_mul_f64_e32 v[60:61], v[112:113], v[2:3]
	v_mul_f64_e32 v[62:63], v[112:113], v[0:1]
	scratch_load_b128 v[112:115], off, off offset:712 th:TH_LOAD_LU ; 16-byte Folded Reload
	s_wait_loadcnt_dscnt 0x109
	v_mul_f64_e32 v[68:69], v[120:121], v[10:11]
	v_mul_f64_e32 v[70:71], v[120:121], v[8:9]
	v_fma_f64 v[60:61], v[110:111], v[0:1], v[60:61]
	v_fma_f64 v[62:63], v[110:111], v[2:3], -v[62:63]
	s_delay_alu instid0(VALU_DEP_4) | instskip(NEXT) | instid1(VALU_DEP_4)
	v_fma_f64 v[68:69], v[118:119], v[8:9], v[68:69]
	v_fma_f64 v[70:71], v[118:119], v[10:11], -v[70:71]
	s_wait_loadcnt 0x0
	v_mul_f64_e32 v[64:65], v[114:115], v[6:7]
	v_mul_f64_e32 v[66:67], v[114:115], v[4:5]
	scratch_load_b128 v[114:117], off, off offset:888 th:TH_LOAD_LU ; 16-byte Folded Reload
	ds_load_b128 v[48:51], v182 offset:9984
	ds_load_b128 v[52:55], v182 offset:10816
	s_clause 0x5
	scratch_load_b128 v[124:127], off, off offset:936 th:TH_LOAD_LU
	scratch_load_b128 v[120:123], off, off offset:920 th:TH_LOAD_LU
	;; [unrolled: 1-line block ×6, first 2 shown]
	ds_load_b128 v[56:59], v182 offset:16640
	ds_load_b128 v[8:11], v182 offset:1664
	v_fma_f64 v[64:65], v[112:113], v[4:5], v[64:65]
	v_fma_f64 v[66:67], v[112:113], v[6:7], -v[66:67]
	ds_load_b128 v[4:7], v182 offset:832
	s_wait_dscnt 0x0
	v_add_f64_e32 v[112:113], v[4:5], v[68:69]
	s_wait_loadcnt 0x6
	v_mul_f64_e32 v[72:73], v[116:117], v[14:15]
	v_mul_f64_e32 v[74:75], v[116:117], v[12:13]
	s_wait_loadcnt 0x5
	v_mul_f64_e32 v[76:77], v[126:127], v[18:19]
	v_mul_f64_e32 v[80:81], v[126:127], v[16:17]
	scratch_load_b128 v[126:129], off, off offset:952 th:TH_LOAD_LU ; 16-byte Folded Reload
	s_wait_loadcnt 0x4
	v_mul_f64_e32 v[84:85], v[132:133], v[26:27]
	v_mul_f64_e32 v[88:89], v[132:133], v[24:25]
	scratch_load_b128 v[132:135], off, off offset:984 th:TH_LOAD_LU ; 16-byte Folded Reload
	;; [unrolled: 4-line block ×4, first 2 shown]
	v_mul_f64_e32 v[78:79], v[122:123], v[22:23]
	v_mul_f64_e32 v[82:83], v[122:123], v[20:21]
	s_wait_loadcnt 0x4
	v_mul_f64_e32 v[0:1], v[150:151], v[54:55]
	v_mul_f64_e32 v[2:3], v[150:151], v[52:53]
	v_fma_f64 v[72:73], v[114:115], v[12:13], v[72:73]
	v_fma_f64 v[74:75], v[114:115], v[14:15], -v[74:75]
	ds_load_b128 v[12:15], v182 offset:2496
	v_fma_f64 v[76:77], v[124:125], v[16:17], v[76:77]
	v_fma_f64 v[80:81], v[124:125], v[18:19], -v[80:81]
	v_fma_f64 v[24:25], v[130:131], v[24:25], v[84:85]
	v_fma_f64 v[26:27], v[130:131], v[26:27], -v[88:89]
	;; [unrolled: 2-line block ×3, first 2 shown]
	v_add_f64_e64 v[116:117], v[70:71], -v[74:75]
	v_add_f64_e32 v[120:121], v[8:9], v[76:77]
	s_wait_dscnt 0x0
	v_add_f64_e32 v[124:125], v[12:13], v[24:25]
	s_delay_alu instid0(VALU_DEP_4)
	v_add_f64_e64 v[122:123], v[80:81], -v[82:83]
	s_wait_loadcnt 0x3
	v_mul_f64_e32 v[86:87], v[128:129], v[34:35]
	v_mul_f64_e32 v[90:91], v[128:129], v[32:33]
	v_add_f64_e32 v[128:129], v[14:15], v[26:27]
	s_wait_loadcnt 0x2
	v_mul_f64_e32 v[94:95], v[134:135], v[42:43]
	v_mul_f64_e32 v[98:99], v[134:135], v[40:41]
	s_wait_loadcnt 0x1
	v_mul_f64_e32 v[102:103], v[140:141], v[46:47]
	v_mul_f64_e32 v[106:107], v[140:141], v[44:45]
	;; [unrolled: 3-line block ×3, first 2 shown]
	v_fma_f64 v[84:85], v[126:127], v[32:33], v[86:87]
	v_fma_f64 v[86:87], v[126:127], v[34:35], -v[90:91]
	v_fma_f64 v[32:33], v[136:137], v[36:37], v[92:93]
	v_fma_f64 v[88:89], v[132:133], v[40:41], v[94:95]
	v_fma_f64 v[34:35], v[136:137], v[38:39], -v[96:97]
	v_fma_f64 v[90:91], v[132:133], v[42:43], -v[98:99]
	v_fma_f64 v[36:37], v[142:143], v[48:49], v[100:101]
	v_fma_f64 v[92:93], v[138:139], v[44:45], v[102:103]
	v_fma_f64 v[38:39], v[142:143], v[50:51], -v[104:105]
	v_fma_f64 v[94:95], v[138:139], v[46:47], -v[106:107]
	v_fma_f64 v[40:41], v[148:149], v[52:53], v[0:1]
	v_fma_f64 v[96:97], v[144:145], v[56:57], v[108:109]
	v_fma_f64 v[42:43], v[148:149], v[54:55], -v[2:3]
	v_fma_f64 v[98:99], v[144:145], v[58:59], -v[110:111]
	ds_load_b128 v[0:3], v182
	v_add_f64_e32 v[44:45], v[60:61], v[64:65]
	v_add_f64_e32 v[46:47], v[62:63], v[66:67]
	;; [unrolled: 1-line block ×6, first 2 shown]
	ds_load_b128 v[16:19], v182 offset:3328
	ds_load_b128 v[20:23], v182 offset:4160
	v_add_f64_e64 v[108:109], v[62:63], -v[66:67]
	v_add_f64_e32 v[70:71], v[6:7], v[70:71]
	v_add_f64_e32 v[80:81], v[10:11], v[80:81]
	v_add_f64_e64 v[68:69], v[68:69], -v[72:73]
	v_add_f64_e64 v[76:77], v[76:77], -v[78:79]
	s_wait_dscnt 0x2
	v_add_f64_e32 v[104:105], v[0:1], v[60:61]
	v_add_f64_e32 v[62:63], v[2:3], v[62:63]
	v_add_f64_e64 v[60:61], v[60:61], -v[64:65]
	v_add_f64_e32 v[56:57], v[24:25], v[84:85]
	v_add_f64_e32 v[58:59], v[26:27], v[86:87]
	v_add_f64_e64 v[126:127], v[26:27], -v[86:87]
	v_add_f64_e32 v[100:101], v[32:33], v[88:89]
	v_add_f64_e64 v[130:131], v[24:25], -v[84:85]
	;; [unrolled: 2-line block ×4, first 2 shown]
	v_add_f64_e32 v[110:111], v[38:39], v[94:95]
	s_wait_dscnt 0x1
	v_add_f64_e32 v[132:133], v[16:17], v[32:33]
	v_add_f64_e32 v[114:115], v[40:41], v[96:97]
	;; [unrolled: 1-line block ×4, first 2 shown]
	s_wait_dscnt 0x0
	v_add_f64_e32 v[140:141], v[20:21], v[36:37]
	v_fma_f64 v[44:45], v[44:45], -0.5, v[0:1]
	v_fma_f64 v[46:47], v[46:47], -0.5, v[2:3]
	;; [unrolled: 1-line block ×6, first 2 shown]
	v_add_f64_e32 v[144:145], v[22:23], v[38:39]
	v_add_f64_e64 v[142:143], v[38:39], -v[94:95]
	v_add_f64_e64 v[146:147], v[36:37], -v[92:93]
	v_add_f64_e32 v[148:149], v[28:29], v[40:41]
	v_add_f64_e32 v[152:153], v[30:31], v[42:43]
	v_add_f64_e64 v[150:151], v[42:43], -v[98:99]
	v_add_f64_e64 v[154:155], v[40:41], -v[96:97]
	v_add_f64_e32 v[4:5], v[112:113], v[72:73]
	v_add_f64_e32 v[6:7], v[70:71], v[74:75]
	;; [unrolled: 1-line block ×8, first 2 shown]
	v_fma_f64 v[56:57], v[56:57], -0.5, v[12:13]
	v_fma_f64 v[58:59], v[58:59], -0.5, v[14:15]
	;; [unrolled: 1-line block ×8, first 2 shown]
	s_wait_alu 0xfffe
	v_fma_f64 v[12:13], v[108:109], s[2:3], v[44:45]
	v_fma_f64 v[14:15], v[60:61], s[0:1], v[46:47]
	;; [unrolled: 1-line block ×12, first 2 shown]
	v_add_f64_e32 v[48:49], v[132:133], v[88:89]
	v_add_f64_e32 v[50:51], v[136:137], v[90:91]
	;; [unrolled: 1-line block ×6, first 2 shown]
	v_fma_f64 v[44:45], v[126:127], s[2:3], v[56:57]
	v_fma_f64 v[46:47], v[130:131], s[0:1], v[58:59]
	;; [unrolled: 1-line block ×16, first 2 shown]
	ds_store_b128 v182, v[0:3]
	ds_store_b128 v182, v[4:7] offset:832
	ds_store_b128 v182, v[24:27] offset:1664
	;; [unrolled: 1-line block ×20, first 2 shown]
	global_wb scope:SCOPE_SE
	s_wait_dscnt 0x0
	s_barrier_signal -1
	s_barrier_wait -1
	global_inv scope:SCOPE_SE
	ds_load_b128 v[0:3], v182
	ds_load_b128 v[4:7], v182 offset:8736
	ds_load_b128 v[8:11], v182 offset:832
	;; [unrolled: 1-line block ×4, first 2 shown]
	s_clause 0x3
	scratch_load_b128 v[61:64], off, off offset:292 th:TH_LOAD_LU
	scratch_load_b128 v[67:70], off, off offset:324 th:TH_LOAD_LU
	scratch_load_b64 v[28:29], off, off offset:220 th:TH_LOAD_LU
	scratch_load_b32 v31, off, off th:TH_LOAD_LU
	ds_load_b128 v[24:27], v182 offset:10400
	s_mov_b32 s2, 0x1e01e01e
	s_mov_b32 s3, 0x3f4e01e0
	ds_load_b128 v[20:23], v182 offset:2496
	s_mul_u64 s[0:1], s[4:5], 0x222
	scratch_load_b128 v[75:78], off, off offset:388 th:TH_LOAD_LU ; 16-byte Folded Reload
	s_wait_loadcnt_dscnt 0x406
	v_mul_f64_e32 v[32:33], v[63:64], v[2:3]
	s_wait_loadcnt_dscnt 0x305
	v_mul_f64_e32 v[36:37], v[69:70], v[6:7]
	v_mul_f64_e32 v[38:39], v[69:70], v[4:5]
	scratch_load_b128 v[69:72], off, off offset:356 th:TH_LOAD_LU ; 16-byte Folded Reload
	v_mul_f64_e32 v[34:35], v[63:64], v[0:1]
	scratch_load_b128 v[63:66], off, off offset:308 th:TH_LOAD_LU ; 16-byte Folded Reload
	s_wait_loadcnt 0x3
	v_mad_co_u64_u32 v[54:55], null, s4, v31, 0
	s_delay_alu instid0(VALU_DEP_1) | instskip(NEXT) | instid1(VALU_DEP_1)
	v_dual_mov_b32 v30, v28 :: v_dual_mov_b32 v29, v55
	v_mad_co_u64_u32 v[52:53], null, s6, v30, 0
	s_delay_alu instid0(VALU_DEP_1) | instskip(NEXT) | instid1(VALU_DEP_1)
	v_mov_b32_e32 v28, v53
	v_mad_co_u64_u32 v[55:56], null, s7, v30, v[28:29]
	v_mad_co_u64_u32 v[56:57], null, s5, v31, v[29:30]
	ds_load_b128 v[28:31], v182 offset:11232
	s_wait_alu 0xfffe
	s_lshl_b64 s[6:7], s[0:1], 4
	s_mul_u64 s[4:5], s[4:5], s[10:11]
	v_mov_b32_e32 v53, v55
	s_wait_alu 0xfffe
	s_lshl_b64 s[4:5], s[4:5], 4
	v_fma_f64 v[32:33], v[61:62], v[0:1], v[32:33]
	v_fma_f64 v[36:37], v[67:68], v[4:5], v[36:37]
	v_fma_f64 v[38:39], v[67:68], v[6:7], -v[38:39]
	ds_load_b128 v[4:7], v182 offset:4160
	v_fma_f64 v[34:35], v[61:62], v[2:3], -v[34:35]
	ds_load_b128 v[0:3], v182 offset:3328
	v_mov_b32_e32 v55, v56
	s_wait_loadcnt_dscnt 0x204
	v_mul_f64_e32 v[57:58], v[77:78], v[26:27]
	v_mul_f64_e32 v[59:60], v[77:78], v[24:25]
	scratch_load_b128 v[77:80], off, off offset:404 th:TH_LOAD_LU ; 16-byte Folded Reload
	v_fma_f64 v[56:57], v[75:76], v[24:25], v[57:58]
	v_fma_f64 v[58:59], v[75:76], v[26:27], -v[59:60]
	s_wait_loadcnt 0x2
	v_mul_f64_e32 v[44:45], v[71:72], v[14:15]
	v_mul_f64_e32 v[46:47], v[71:72], v[12:13]
	scratch_load_b128 v[71:74], off, off offset:420 th:TH_LOAD_LU ; 16-byte Folded Reload
	v_fma_f64 v[44:45], v[69:70], v[12:13], v[44:45]
	v_fma_f64 v[46:47], v[69:70], v[14:15], -v[46:47]
	v_mul_f64_e32 v[12:13], s[2:3], v[36:37]
	v_mul_f64_e32 v[14:15], s[2:3], v[38:39]
	ds_load_b128 v[36:39], v182 offset:12064
	s_wait_loadcnt_dscnt 0x103
	v_mul_f64_e32 v[61:62], v[79:80], v[30:31]
	v_mul_f64_e32 v[24:25], s[2:3], v[44:45]
	;; [unrolled: 1-line block ×3, first 2 shown]
	s_wait_loadcnt 0x0
	v_mul_f64_e32 v[48:49], v[73:74], v[18:19]
	v_mul_f64_e32 v[50:51], v[73:74], v[16:17]
	s_delay_alu instid0(VALU_DEP_2) | instskip(NEXT) | instid1(VALU_DEP_2)
	v_fma_f64 v[48:49], v[71:72], v[16:17], v[48:49]
	v_fma_f64 v[50:51], v[71:72], v[18:19], -v[50:51]
	scratch_load_b128 v[71:74], off, off offset:340 th:TH_LOAD_LU ; 16-byte Folded Reload
	v_mul_f64_e32 v[40:41], v[65:66], v[10:11]
	v_mul_f64_e32 v[42:43], v[65:66], v[8:9]
	s_delay_alu instid0(VALU_DEP_2) | instskip(NEXT) | instid1(VALU_DEP_2)
	v_fma_f64 v[40:41], v[63:64], v[8:9], v[40:41]
	v_fma_f64 v[42:43], v[63:64], v[10:11], -v[42:43]
	v_mul_f64_e32 v[63:64], v[79:80], v[28:29]
	scratch_load_b128 v[79:82], off, off offset:452 th:TH_LOAD_LU ; 16-byte Folded Reload
	v_lshlrev_b64_e32 v[8:9], 4, v[52:53]
	v_lshlrev_b64_e32 v[10:11], 4, v[54:55]
	s_delay_alu instid0(VALU_DEP_2) | instskip(SKIP_1) | instid1(VALU_DEP_3)
	v_add_co_u32 v8, s0, s8, v8
	s_wait_alu 0xf1ff
	v_add_co_ci_u32_e64 v9, s0, s9, v9, s0
	s_delay_alu instid0(VALU_DEP_2) | instskip(SKIP_1) | instid1(VALU_DEP_2)
	v_add_co_u32 v69, s0, v8, v10
	s_wait_alu 0xf1ff
	v_add_co_ci_u32_e64 v70, s0, v9, v11, s0
	v_mul_f64_e32 v[8:9], s[2:3], v[32:33]
	v_mul_f64_e32 v[32:33], s[2:3], v[48:49]
	;; [unrolled: 1-line block ×4, first 2 shown]
	v_add_co_u32 v44, s0, v69, s6
	s_wait_alu 0xf1ff
	v_add_co_ci_u32_e64 v45, s0, s7, v70, s0
	s_wait_alu 0xfffe
	s_delay_alu instid0(VALU_DEP_2) | instskip(SKIP_1) | instid1(VALU_DEP_2)
	v_add_co_u32 v46, s0, v44, s4
	s_wait_alu 0xf1ff
	v_add_co_ci_u32_e64 v47, s0, s5, v45, s0
	s_delay_alu instid0(VALU_DEP_2) | instskip(SKIP_1) | instid1(VALU_DEP_2)
	v_add_co_u32 v50, s0, v46, s6
	s_wait_alu 0xf1ff
	v_add_co_ci_u32_e64 v51, s0, s7, v47, s0
	v_mul_f64_e32 v[16:17], s[2:3], v[40:41]
	v_mul_f64_e32 v[18:19], s[2:3], v[42:43]
	s_wait_loadcnt 0x1
	v_mul_f64_e32 v[52:53], v[73:74], v[22:23]
	v_mul_f64_e32 v[54:55], v[73:74], v[20:21]
	s_delay_alu instid0(VALU_DEP_2) | instskip(NEXT) | instid1(VALU_DEP_2)
	v_fma_f64 v[48:49], v[71:72], v[20:21], v[52:53]
	v_fma_f64 v[52:53], v[71:72], v[22:23], -v[54:55]
	v_fma_f64 v[54:55], v[77:78], v[28:29], v[61:62]
	v_fma_f64 v[60:61], v[77:78], v[30:31], -v[63:64]
	s_wait_loadcnt_dscnt 0x1
	v_mul_f64_e32 v[65:66], v[81:82], v[2:3]
	v_mul_f64_e32 v[67:68], v[81:82], v[0:1]
	;; [unrolled: 1-line block ×4, first 2 shown]
	s_delay_alu instid0(VALU_DEP_4) | instskip(NEXT) | instid1(VALU_DEP_4)
	v_fma_f64 v[62:63], v[79:80], v[0:1], v[65:66]
	v_fma_f64 v[64:65], v[79:80], v[2:3], -v[67:68]
	ds_load_b128 v[0:3], v182 offset:12896
	ds_load_b128 v[20:23], v182 offset:13728
	s_clause 0x1
	scratch_load_b128 v[111:114], off, off offset:188 th:TH_LOAD_LU
	scratch_load_b128 v[107:110], off, off offset:172 th:TH_LOAD_LU
	v_add_co_u32 v66, s0, v50, s4
	s_wait_alu 0xf1ff
	v_add_co_ci_u32_e64 v67, s0, s5, v51, s0
	ds_load_b128 v[40:43], v182 offset:4992
	s_clause 0x4
	global_store_b128 v[69:70], v[8:11], off
	global_store_b128 v[44:45], v[12:15], off
	;; [unrolled: 1-line block ×5, first 2 shown]
	ds_load_b128 v[8:11], v182 offset:5824
	ds_load_b128 v[12:15], v182 offset:14560
	;; [unrolled: 1-line block ×5, first 2 shown]
	v_mul_f64_e32 v[44:45], s[2:3], v[48:49]
	ds_load_b128 v[48:51], v182 offset:16224
	v_mul_f64_e32 v[46:47], s[2:3], v[52:53]
	v_mul_f64_e32 v[52:53], s[2:3], v[54:55]
	;; [unrolled: 1-line block ×3, first 2 shown]
	v_add_co_u32 v66, s0, v66, s6
	s_wait_alu 0xf1ff
	v_add_co_ci_u32_e64 v67, s0, s7, v67, s0
	scratch_load_b128 v[121:124], off, off offset:260 th:TH_LOAD_LU ; 16-byte Folded Reload
	v_add_co_u32 v70, s0, v66, s4
	v_mul_f64_e32 v[56:57], s[2:3], v[62:63]
	v_mul_f64_e32 v[58:59], s[2:3], v[64:65]
	s_wait_loadcnt_dscnt 0x209
	v_mul_f64_e32 v[71:72], v[113:114], v[38:39]
	v_mul_f64_e32 v[73:74], v[113:114], v[36:37]
	scratch_load_b128 v[113:116], off, off offset:204 th:TH_LOAD_LU ; 16-byte Folded Reload
	s_wait_loadcnt 0x2
	v_mul_f64_e32 v[75:76], v[109:110], v[6:7]
	v_mul_f64_e32 v[77:78], v[109:110], v[4:5]
	s_wait_loadcnt_dscnt 0x107
	v_mul_f64_e32 v[85:86], v[123:124], v[22:23]
	v_mul_f64_e32 v[87:88], v[123:124], v[20:21]
	scratch_load_b128 v[123:126], off, off offset:276 th:TH_LOAD_LU ; 16-byte Folded Reload
	v_fma_f64 v[36:37], v[111:112], v[36:37], v[71:72]
	v_fma_f64 v[38:39], v[111:112], v[38:39], -v[73:74]
	s_wait_alu 0xf1ff
	v_add_co_ci_u32_e64 v71, s0, s5, v67, s0
	v_fma_f64 v[4:5], v[107:108], v[4:5], v[75:76]
	v_fma_f64 v[6:7], v[107:108], v[6:7], -v[77:78]
	v_add_co_u32 v72, s0, v70, s6
	s_wait_alu 0xf1ff
	v_add_co_ci_u32_e64 v73, s0, s7, v71, s0
	s_delay_alu instid0(VALU_DEP_2) | instskip(SKIP_1) | instid1(VALU_DEP_2)
	v_add_co_u32 v76, s0, v72, s4
	s_wait_alu 0xf1ff
	v_add_co_ci_u32_e64 v77, s0, s5, v73, s0
	v_fma_f64 v[20:21], v[121:122], v[20:21], v[85:86]
	v_fma_f64 v[22:23], v[121:122], v[22:23], -v[87:88]
	v_mul_f64_e32 v[4:5], s[2:3], v[4:5]
	v_mul_f64_e32 v[6:7], s[2:3], v[6:7]
	s_wait_loadcnt 0x1
	v_mul_f64_e32 v[68:69], v[115:116], v[2:3]
	v_mul_f64_e32 v[79:80], v[115:116], v[0:1]
	scratch_load_b128 v[115:118], off, off offset:228 th:TH_LOAD_LU ; 16-byte Folded Reload
	s_wait_loadcnt_dscnt 0x104
	v_mul_f64_e32 v[64:65], v[125:126], v[14:15]
	v_mul_f64_e32 v[89:90], v[125:126], v[12:13]
	scratch_load_b128 v[125:128], off, off offset:372 th:TH_LOAD_LU ; 16-byte Folded Reload
	v_fma_f64 v[68:69], v[113:114], v[0:1], v[68:69]
	v_fma_f64 v[74:75], v[113:114], v[2:3], -v[79:80]
	v_mul_f64_e32 v[0:1], s[2:3], v[36:37]
	v_mul_f64_e32 v[2:3], s[2:3], v[38:39]
	s_wait_loadcnt 0x1
	v_mul_f64_e32 v[81:82], v[117:118], v[42:43]
	v_mul_f64_e32 v[83:84], v[117:118], v[40:41]
	scratch_load_b128 v[117:120], off, off offset:244 th:TH_LOAD_LU ; 16-byte Folded Reload
	s_wait_loadcnt_dscnt 0x103
	v_mul_f64_e32 v[91:92], v[127:128], v[18:19]
	v_mul_f64_e32 v[93:94], v[127:128], v[16:17]
	scratch_load_b128 v[127:130], off, off offset:436 th:TH_LOAD_LU ; 16-byte Folded Reload
	v_fma_f64 v[40:41], v[115:116], v[40:41], v[81:82]
	v_fma_f64 v[42:43], v[115:116], v[42:43], -v[83:84]
	s_wait_loadcnt 0x1
	v_mul_f64_e32 v[60:61], v[119:120], v[10:11]
	v_mul_f64_e32 v[62:63], v[119:120], v[8:9]
	s_wait_loadcnt_dscnt 0x1
	v_mul_f64_e32 v[95:96], v[129:130], v[26:27]
	v_mul_f64_e32 v[97:98], v[129:130], v[24:25]
	scratch_load_b128 v[129:132], off, off offset:468 th:TH_LOAD_LU ; 16-byte Folded Reload
	s_wait_loadcnt 0x0
	v_mul_f64_e32 v[99:100], v[131:132], v[34:35]
	v_mul_f64_e32 v[101:102], v[131:132], v[32:33]
	scratch_load_b128 v[131:134], off, off offset:484 th:TH_LOAD_LU ; 16-byte Folded Reload
	global_store_b128 v[66:67], v[28:31], off
	global_store_b128 v[70:71], v[44:47], off
	;; [unrolled: 1-line block ×4, first 2 shown]
	v_fma_f64 v[28:29], v[117:118], v[8:9], v[60:61]
	v_fma_f64 v[30:31], v[117:118], v[10:11], -v[62:63]
	v_fma_f64 v[44:45], v[123:124], v[12:13], v[64:65]
	v_fma_f64 v[46:47], v[123:124], v[14:15], -v[89:90]
	;; [unrolled: 2-line block ×4, first 2 shown]
	v_add_co_u32 v64, s0, v76, s6
	v_mul_f64_e32 v[8:9], s[2:3], v[68:69]
	v_mul_f64_e32 v[10:11], s[2:3], v[74:75]
	;; [unrolled: 1-line block ×6, first 2 shown]
	s_wait_alu 0xf1ff
	v_add_co_ci_u32_e64 v65, s0, s7, v77, s0
	v_add_co_u32 v66, s0, v64, s4
	s_wait_alu 0xf1ff
	s_delay_alu instid0(VALU_DEP_2)
	v_add_co_ci_u32_e64 v67, s0, s5, v65, s0
	global_store_b128 v[64:65], v[0:3], off
	v_add_co_u32 v68, s0, v66, s6
	s_wait_alu 0xf1ff
	v_add_co_ci_u32_e64 v69, s0, s7, v67, s0
	global_store_b128 v[66:67], v[4:7], off
	v_add_co_u32 v70, s0, v68, s4
	s_wait_alu 0xf1ff
	v_add_co_ci_u32_e64 v71, s0, s5, v69, s0
	v_fma_f64 v[60:61], v[129:130], v[32:33], v[99:100]
	v_fma_f64 v[62:63], v[129:130], v[34:35], -v[101:102]
	v_mul_f64_e32 v[20:21], s[2:3], v[28:29]
	v_mul_f64_e32 v[22:23], s[2:3], v[30:31]
	;; [unrolled: 1-line block ×6, first 2 shown]
	v_add_co_u32 v44, s0, v70, s6
	v_mul_f64_e32 v[32:33], s[2:3], v[56:57]
	v_mul_f64_e32 v[34:35], s[2:3], v[58:59]
	s_wait_alu 0xf1ff
	v_add_co_ci_u32_e64 v45, s0, s7, v71, s0
	global_store_b128 v[68:69], v[8:11], off
	global_store_b128 v[70:71], v[12:15], off
	v_add_co_u32 v0, s0, v44, s4
	s_wait_alu 0xf1ff
	v_add_co_ci_u32_e64 v1, s0, s5, v45, s0
	global_store_b128 v[44:45], v[16:19], off
	v_add_co_u32 v2, s0, v0, s6
	s_wait_alu 0xf1ff
	v_add_co_ci_u32_e64 v3, s0, s7, v1, s0
	s_delay_alu instid0(VALU_DEP_2) | instskip(SKIP_1) | instid1(VALU_DEP_2)
	v_add_co_u32 v4, s0, v2, s4
	s_wait_alu 0xf1ff
	v_add_co_ci_u32_e64 v5, s0, s5, v3, s0
	s_delay_alu instid0(VALU_DEP_2) | instskip(SKIP_1) | instid1(VALU_DEP_2)
	;; [unrolled: 4-line block ×3, first 2 shown]
	v_add_co_u32 v8, s0, v6, s4
	s_wait_alu 0xf1ff
	v_add_co_ci_u32_e64 v9, s0, s5, v7, s0
	v_mul_f64_e32 v[36:37], s[2:3], v[60:61]
	v_mul_f64_e32 v[38:39], s[2:3], v[62:63]
	global_store_b128 v[0:1], v[20:23], off
	v_add_co_u32 v0, s0, v8, s6
	s_wait_alu 0xf1ff
	v_add_co_ci_u32_e64 v1, s0, s7, v9, s0
	s_wait_loadcnt_dscnt 0x0
	v_mul_f64_e32 v[103:104], v[133:134], v[50:51]
	v_mul_f64_e32 v[105:106], v[133:134], v[48:49]
	s_delay_alu instid0(VALU_DEP_2) | instskip(NEXT) | instid1(VALU_DEP_2)
	v_fma_f64 v[48:49], v[131:132], v[48:49], v[103:104]
	v_fma_f64 v[50:51], v[131:132], v[50:51], -v[105:106]
	s_delay_alu instid0(VALU_DEP_2) | instskip(NEXT) | instid1(VALU_DEP_2)
	v_mul_f64_e32 v[40:41], s[2:3], v[48:49]
	v_mul_f64_e32 v[42:43], s[2:3], v[50:51]
	global_store_b128 v[2:3], v[24:27], off
	global_store_b128 v[4:5], v[28:31], off
	;; [unrolled: 1-line block ×5, first 2 shown]
	s_and_b32 exec_lo, exec_lo, vcc_lo
	s_cbranch_execz .LBB0_31
; %bb.30:
	scratch_load_b64 v[16:17], off, off offset:4 th:TH_LOAD_LU ; 8-byte Folded Reload
	s_wait_loadcnt 0x0
	global_load_b128 v[2:5], v[16:17], off offset:8320
	ds_load_b128 v[6:9], v182 offset:8320
	ds_load_b128 v[10:13], v182 offset:17056
	s_wait_loadcnt_dscnt 0x1
	v_mul_f64_e32 v[14:15], v[8:9], v[4:5]
	v_mul_f64_e32 v[4:5], v[6:7], v[4:5]
	s_delay_alu instid0(VALU_DEP_2) | instskip(NEXT) | instid1(VALU_DEP_2)
	v_fma_f64 v[6:7], v[6:7], v[2:3], v[14:15]
	v_fma_f64 v[4:5], v[2:3], v[8:9], -v[4:5]
	s_delay_alu instid0(VALU_DEP_2) | instskip(NEXT) | instid1(VALU_DEP_2)
	v_mul_f64_e32 v[2:3], s[2:3], v[6:7]
	v_mul_f64_e32 v[4:5], s[2:3], v[4:5]
	v_add_co_u32 v6, vcc_lo, v0, s4
	s_wait_alu 0xfffd
	v_add_co_ci_u32_e32 v7, vcc_lo, s5, v1, vcc_lo
	global_store_b128 v[6:7], v[2:5], off
	global_load_b128 v[0:3], v[16:17], off offset:17056
	s_wait_loadcnt_dscnt 0x0
	v_mul_f64_e32 v[4:5], v[12:13], v[2:3]
	v_mul_f64_e32 v[2:3], v[10:11], v[2:3]
	s_delay_alu instid0(VALU_DEP_2) | instskip(NEXT) | instid1(VALU_DEP_2)
	v_fma_f64 v[4:5], v[10:11], v[0:1], v[4:5]
	v_fma_f64 v[2:3], v[0:1], v[12:13], -v[2:3]
	s_delay_alu instid0(VALU_DEP_2) | instskip(NEXT) | instid1(VALU_DEP_2)
	v_mul_f64_e32 v[0:1], s[2:3], v[4:5]
	v_mul_f64_e32 v[2:3], s[2:3], v[2:3]
	v_add_co_u32 v4, vcc_lo, v6, s6
	s_wait_alu 0xfffd
	v_add_co_ci_u32_e32 v5, vcc_lo, s7, v7, vcc_lo
	global_store_b128 v[4:5], v[0:3], off
.LBB0_31:
	s_nop 0
	s_sendmsg sendmsg(MSG_DEALLOC_VGPRS)
	s_endpgm
	.section	.rodata,"a",@progbits
	.p2align	6, 0x0
	.amdhsa_kernel bluestein_single_fwd_len1092_dim1_dp_op_CI_CI
		.amdhsa_group_segment_fixed_size 17472
		.amdhsa_private_segment_fixed_size 1204
		.amdhsa_kernarg_size 104
		.amdhsa_user_sgpr_count 2
		.amdhsa_user_sgpr_dispatch_ptr 0
		.amdhsa_user_sgpr_queue_ptr 0
		.amdhsa_user_sgpr_kernarg_segment_ptr 1
		.amdhsa_user_sgpr_dispatch_id 0
		.amdhsa_user_sgpr_private_segment_size 0
		.amdhsa_wavefront_size32 1
		.amdhsa_uses_dynamic_stack 0
		.amdhsa_enable_private_segment 1
		.amdhsa_system_sgpr_workgroup_id_x 1
		.amdhsa_system_sgpr_workgroup_id_y 0
		.amdhsa_system_sgpr_workgroup_id_z 0
		.amdhsa_system_sgpr_workgroup_info 0
		.amdhsa_system_vgpr_workitem_id 0
		.amdhsa_next_free_vgpr 256
		.amdhsa_next_free_sgpr 50
		.amdhsa_reserve_vcc 1
		.amdhsa_float_round_mode_32 0
		.amdhsa_float_round_mode_16_64 0
		.amdhsa_float_denorm_mode_32 3
		.amdhsa_float_denorm_mode_16_64 3
		.amdhsa_fp16_overflow 0
		.amdhsa_workgroup_processor_mode 1
		.amdhsa_memory_ordered 1
		.amdhsa_forward_progress 0
		.amdhsa_round_robin_scheduling 0
		.amdhsa_exception_fp_ieee_invalid_op 0
		.amdhsa_exception_fp_denorm_src 0
		.amdhsa_exception_fp_ieee_div_zero 0
		.amdhsa_exception_fp_ieee_overflow 0
		.amdhsa_exception_fp_ieee_underflow 0
		.amdhsa_exception_fp_ieee_inexact 0
		.amdhsa_exception_int_div_zero 0
	.end_amdhsa_kernel
	.text
.Lfunc_end0:
	.size	bluestein_single_fwd_len1092_dim1_dp_op_CI_CI, .Lfunc_end0-bluestein_single_fwd_len1092_dim1_dp_op_CI_CI
                                        ; -- End function
	.section	.AMDGPU.csdata,"",@progbits
; Kernel info:
; codeLenInByte = 35600
; NumSgprs: 52
; NumVgprs: 256
; ScratchSize: 1204
; MemoryBound: 0
; FloatMode: 240
; IeeeMode: 1
; LDSByteSize: 17472 bytes/workgroup (compile time only)
; SGPRBlocks: 6
; VGPRBlocks: 31
; NumSGPRsForWavesPerEU: 52
; NumVGPRsForWavesPerEU: 256
; Occupancy: 4
; WaveLimiterHint : 1
; COMPUTE_PGM_RSRC2:SCRATCH_EN: 1
; COMPUTE_PGM_RSRC2:USER_SGPR: 2
; COMPUTE_PGM_RSRC2:TRAP_HANDLER: 0
; COMPUTE_PGM_RSRC2:TGID_X_EN: 1
; COMPUTE_PGM_RSRC2:TGID_Y_EN: 0
; COMPUTE_PGM_RSRC2:TGID_Z_EN: 0
; COMPUTE_PGM_RSRC2:TIDIG_COMP_CNT: 0
	.text
	.p2alignl 7, 3214868480
	.fill 96, 4, 3214868480
	.type	__hip_cuid_aa9ac55f46f4231,@object ; @__hip_cuid_aa9ac55f46f4231
	.section	.bss,"aw",@nobits
	.globl	__hip_cuid_aa9ac55f46f4231
__hip_cuid_aa9ac55f46f4231:
	.byte	0                               ; 0x0
	.size	__hip_cuid_aa9ac55f46f4231, 1

	.ident	"AMD clang version 19.0.0git (https://github.com/RadeonOpenCompute/llvm-project roc-6.4.0 25133 c7fe45cf4b819c5991fe208aaa96edf142730f1d)"
	.section	".note.GNU-stack","",@progbits
	.addrsig
	.addrsig_sym __hip_cuid_aa9ac55f46f4231
	.amdgpu_metadata
---
amdhsa.kernels:
  - .args:
      - .actual_access:  read_only
        .address_space:  global
        .offset:         0
        .size:           8
        .value_kind:     global_buffer
      - .actual_access:  read_only
        .address_space:  global
        .offset:         8
        .size:           8
        .value_kind:     global_buffer
      - .actual_access:  read_only
        .address_space:  global
        .offset:         16
        .size:           8
        .value_kind:     global_buffer
      - .actual_access:  read_only
        .address_space:  global
        .offset:         24
        .size:           8
        .value_kind:     global_buffer
      - .actual_access:  read_only
        .address_space:  global
        .offset:         32
        .size:           8
        .value_kind:     global_buffer
      - .offset:         40
        .size:           8
        .value_kind:     by_value
      - .address_space:  global
        .offset:         48
        .size:           8
        .value_kind:     global_buffer
      - .address_space:  global
        .offset:         56
        .size:           8
        .value_kind:     global_buffer
      - .address_space:  global
        .offset:         64
        .size:           8
        .value_kind:     global_buffer
      - .address_space:  global
        .offset:         72
        .size:           8
        .value_kind:     global_buffer
      - .offset:         80
        .size:           4
        .value_kind:     by_value
      - .address_space:  global
        .offset:         88
        .size:           8
        .value_kind:     global_buffer
      - .address_space:  global
        .offset:         96
        .size:           8
        .value_kind:     global_buffer
    .group_segment_fixed_size: 17472
    .kernarg_segment_align: 8
    .kernarg_segment_size: 104
    .language:       OpenCL C
    .language_version:
      - 2
      - 0
    .max_flat_workgroup_size: 52
    .name:           bluestein_single_fwd_len1092_dim1_dp_op_CI_CI
    .private_segment_fixed_size: 1204
    .sgpr_count:     52
    .sgpr_spill_count: 0
    .symbol:         bluestein_single_fwd_len1092_dim1_dp_op_CI_CI.kd
    .uniform_work_group_size: 1
    .uses_dynamic_stack: false
    .vgpr_count:     256
    .vgpr_spill_count: 372
    .wavefront_size: 32
    .workgroup_processor_mode: 1
amdhsa.target:   amdgcn-amd-amdhsa--gfx1201
amdhsa.version:
  - 1
  - 2
...

	.end_amdgpu_metadata
